;; amdgpu-corpus repo=ROCm/rocFFT kind=compiled arch=gfx1201 opt=O3
	.text
	.amdgcn_target "amdgcn-amd-amdhsa--gfx1201"
	.amdhsa_code_object_version 6
	.protected	fft_rtc_fwd_len480_factors_10_8_6_wgs_64_tpt_16_halfLds_sp_ip_CI_unitstride_sbrr_C2R_dirReg ; -- Begin function fft_rtc_fwd_len480_factors_10_8_6_wgs_64_tpt_16_halfLds_sp_ip_CI_unitstride_sbrr_C2R_dirReg
	.globl	fft_rtc_fwd_len480_factors_10_8_6_wgs_64_tpt_16_halfLds_sp_ip_CI_unitstride_sbrr_C2R_dirReg
	.p2align	8
	.type	fft_rtc_fwd_len480_factors_10_8_6_wgs_64_tpt_16_halfLds_sp_ip_CI_unitstride_sbrr_C2R_dirReg,@function
fft_rtc_fwd_len480_factors_10_8_6_wgs_64_tpt_16_halfLds_sp_ip_CI_unitstride_sbrr_C2R_dirReg: ; @fft_rtc_fwd_len480_factors_10_8_6_wgs_64_tpt_16_halfLds_sp_ip_CI_unitstride_sbrr_C2R_dirReg
; %bb.0:
	s_clause 0x2
	s_load_b128 s[4:7], s[0:1], 0x0
	s_load_b64 s[8:9], s[0:1], 0x50
	s_load_b64 s[10:11], s[0:1], 0x18
	v_lshrrev_b32_e32 v9, 4, v0
	v_mov_b32_e32 v3, 0
	v_mov_b32_e32 v1, 0
	;; [unrolled: 1-line block ×3, first 2 shown]
	s_delay_alu instid0(VALU_DEP_4) | instskip(NEXT) | instid1(VALU_DEP_4)
	v_lshl_or_b32 v5, ttmp9, 2, v9
	v_mov_b32_e32 v6, v3
	s_wait_kmcnt 0x0
	v_cmp_lt_u64_e64 s2, s[6:7], 2
	s_delay_alu instid0(VALU_DEP_1)
	s_and_b32 vcc_lo, exec_lo, s2
	s_cbranch_vccnz .LBB0_8
; %bb.1:
	s_load_b64 s[2:3], s[0:1], 0x10
	v_mov_b32_e32 v1, 0
	v_mov_b32_e32 v2, 0
	s_add_nc_u64 s[12:13], s[10:11], 8
	s_mov_b64 s[14:15], 1
	s_wait_kmcnt 0x0
	s_add_nc_u64 s[16:17], s[2:3], 8
	s_mov_b32 s3, 0
.LBB0_2:                                ; =>This Inner Loop Header: Depth=1
	s_load_b64 s[18:19], s[16:17], 0x0
                                        ; implicit-def: $vgpr7_vgpr8
	s_mov_b32 s2, exec_lo
	s_wait_kmcnt 0x0
	v_or_b32_e32 v4, s19, v6
	s_delay_alu instid0(VALU_DEP_1)
	v_cmpx_ne_u64_e32 0, v[3:4]
	s_wait_alu 0xfffe
	s_xor_b32 s20, exec_lo, s2
	s_cbranch_execz .LBB0_4
; %bb.3:                                ;   in Loop: Header=BB0_2 Depth=1
	s_cvt_f32_u32 s2, s18
	s_cvt_f32_u32 s21, s19
	s_sub_nc_u64 s[24:25], 0, s[18:19]
	s_wait_alu 0xfffe
	s_delay_alu instid0(SALU_CYCLE_1) | instskip(SKIP_1) | instid1(SALU_CYCLE_2)
	s_fmamk_f32 s2, s21, 0x4f800000, s2
	s_wait_alu 0xfffe
	v_s_rcp_f32 s2, s2
	s_delay_alu instid0(TRANS32_DEP_1) | instskip(SKIP_1) | instid1(SALU_CYCLE_2)
	s_mul_f32 s2, s2, 0x5f7ffffc
	s_wait_alu 0xfffe
	s_mul_f32 s21, s2, 0x2f800000
	s_wait_alu 0xfffe
	s_delay_alu instid0(SALU_CYCLE_2) | instskip(SKIP_1) | instid1(SALU_CYCLE_2)
	s_trunc_f32 s21, s21
	s_wait_alu 0xfffe
	s_fmamk_f32 s2, s21, 0xcf800000, s2
	s_cvt_u32_f32 s23, s21
	s_wait_alu 0xfffe
	s_delay_alu instid0(SALU_CYCLE_1) | instskip(SKIP_1) | instid1(SALU_CYCLE_2)
	s_cvt_u32_f32 s22, s2
	s_wait_alu 0xfffe
	s_mul_u64 s[26:27], s[24:25], s[22:23]
	s_wait_alu 0xfffe
	s_mul_hi_u32 s29, s22, s27
	s_mul_i32 s28, s22, s27
	s_mul_hi_u32 s2, s22, s26
	s_mul_i32 s30, s23, s26
	s_wait_alu 0xfffe
	s_add_nc_u64 s[28:29], s[2:3], s[28:29]
	s_mul_hi_u32 s21, s23, s26
	s_mul_hi_u32 s31, s23, s27
	s_add_co_u32 s2, s28, s30
	s_wait_alu 0xfffe
	s_add_co_ci_u32 s2, s29, s21
	s_mul_i32 s26, s23, s27
	s_add_co_ci_u32 s27, s31, 0
	s_wait_alu 0xfffe
	s_add_nc_u64 s[26:27], s[2:3], s[26:27]
	s_wait_alu 0xfffe
	v_add_co_u32 v4, s2, s22, s26
	s_delay_alu instid0(VALU_DEP_1) | instskip(SKIP_1) | instid1(VALU_DEP_1)
	s_cmp_lg_u32 s2, 0
	s_add_co_ci_u32 s23, s23, s27
	v_readfirstlane_b32 s22, v4
	s_wait_alu 0xfffe
	s_delay_alu instid0(VALU_DEP_1)
	s_mul_u64 s[24:25], s[24:25], s[22:23]
	s_wait_alu 0xfffe
	s_mul_hi_u32 s27, s22, s25
	s_mul_i32 s26, s22, s25
	s_mul_hi_u32 s2, s22, s24
	s_mul_i32 s28, s23, s24
	s_wait_alu 0xfffe
	s_add_nc_u64 s[26:27], s[2:3], s[26:27]
	s_mul_hi_u32 s21, s23, s24
	s_mul_hi_u32 s22, s23, s25
	s_wait_alu 0xfffe
	s_add_co_u32 s2, s26, s28
	s_add_co_ci_u32 s2, s27, s21
	s_mul_i32 s24, s23, s25
	s_add_co_ci_u32 s25, s22, 0
	s_wait_alu 0xfffe
	s_add_nc_u64 s[24:25], s[2:3], s[24:25]
	s_wait_alu 0xfffe
	v_add_co_u32 v4, s2, v4, s24
	s_delay_alu instid0(VALU_DEP_1) | instskip(SKIP_1) | instid1(VALU_DEP_1)
	s_cmp_lg_u32 s2, 0
	s_add_co_ci_u32 s2, s23, s25
	v_mul_hi_u32 v14, v5, v4
	s_wait_alu 0xfffe
	v_mad_co_u64_u32 v[7:8], null, v5, s2, 0
	v_mad_co_u64_u32 v[10:11], null, v6, v4, 0
	;; [unrolled: 1-line block ×3, first 2 shown]
	s_delay_alu instid0(VALU_DEP_3) | instskip(SKIP_1) | instid1(VALU_DEP_4)
	v_add_co_u32 v4, vcc_lo, v14, v7
	s_wait_alu 0xfffd
	v_add_co_ci_u32_e32 v7, vcc_lo, 0, v8, vcc_lo
	s_delay_alu instid0(VALU_DEP_2) | instskip(SKIP_1) | instid1(VALU_DEP_2)
	v_add_co_u32 v4, vcc_lo, v4, v10
	s_wait_alu 0xfffd
	v_add_co_ci_u32_e32 v4, vcc_lo, v7, v11, vcc_lo
	s_wait_alu 0xfffd
	v_add_co_ci_u32_e32 v7, vcc_lo, 0, v13, vcc_lo
	s_delay_alu instid0(VALU_DEP_2) | instskip(SKIP_1) | instid1(VALU_DEP_2)
	v_add_co_u32 v4, vcc_lo, v4, v12
	s_wait_alu 0xfffd
	v_add_co_ci_u32_e32 v10, vcc_lo, 0, v7, vcc_lo
	s_delay_alu instid0(VALU_DEP_2) | instskip(SKIP_1) | instid1(VALU_DEP_3)
	v_mul_lo_u32 v11, s19, v4
	v_mad_co_u64_u32 v[7:8], null, s18, v4, 0
	v_mul_lo_u32 v12, s18, v10
	s_delay_alu instid0(VALU_DEP_2) | instskip(NEXT) | instid1(VALU_DEP_2)
	v_sub_co_u32 v7, vcc_lo, v5, v7
	v_add3_u32 v8, v8, v12, v11
	s_delay_alu instid0(VALU_DEP_1) | instskip(SKIP_1) | instid1(VALU_DEP_1)
	v_sub_nc_u32_e32 v11, v6, v8
	s_wait_alu 0xfffd
	v_subrev_co_ci_u32_e64 v11, s2, s19, v11, vcc_lo
	v_add_co_u32 v12, s2, v4, 2
	s_wait_alu 0xf1ff
	v_add_co_ci_u32_e64 v13, s2, 0, v10, s2
	v_sub_co_u32 v14, s2, v7, s18
	v_sub_co_ci_u32_e32 v8, vcc_lo, v6, v8, vcc_lo
	s_wait_alu 0xf1ff
	v_subrev_co_ci_u32_e64 v11, s2, 0, v11, s2
	s_delay_alu instid0(VALU_DEP_3) | instskip(NEXT) | instid1(VALU_DEP_3)
	v_cmp_le_u32_e32 vcc_lo, s18, v14
	v_cmp_eq_u32_e64 s2, s19, v8
	s_wait_alu 0xfffd
	v_cndmask_b32_e64 v14, 0, -1, vcc_lo
	v_cmp_le_u32_e32 vcc_lo, s19, v11
	s_wait_alu 0xfffd
	v_cndmask_b32_e64 v15, 0, -1, vcc_lo
	v_cmp_le_u32_e32 vcc_lo, s18, v7
	;; [unrolled: 3-line block ×3, first 2 shown]
	s_wait_alu 0xfffd
	v_cndmask_b32_e64 v16, 0, -1, vcc_lo
	v_cmp_eq_u32_e32 vcc_lo, s19, v11
	s_wait_alu 0xf1ff
	s_delay_alu instid0(VALU_DEP_2)
	v_cndmask_b32_e64 v7, v16, v7, s2
	s_wait_alu 0xfffd
	v_cndmask_b32_e32 v11, v15, v14, vcc_lo
	v_add_co_u32 v14, vcc_lo, v4, 1
	s_wait_alu 0xfffd
	v_add_co_ci_u32_e32 v15, vcc_lo, 0, v10, vcc_lo
	s_delay_alu instid0(VALU_DEP_3) | instskip(SKIP_1) | instid1(VALU_DEP_2)
	v_cmp_ne_u32_e32 vcc_lo, 0, v11
	s_wait_alu 0xfffd
	v_dual_cndmask_b32 v8, v15, v13 :: v_dual_cndmask_b32 v11, v14, v12
	v_cmp_ne_u32_e32 vcc_lo, 0, v7
	s_wait_alu 0xfffd
	s_delay_alu instid0(VALU_DEP_2)
	v_dual_cndmask_b32 v8, v10, v8 :: v_dual_cndmask_b32 v7, v4, v11
.LBB0_4:                                ;   in Loop: Header=BB0_2 Depth=1
	s_wait_alu 0xfffe
	s_and_not1_saveexec_b32 s2, s20
	s_cbranch_execz .LBB0_6
; %bb.5:                                ;   in Loop: Header=BB0_2 Depth=1
	v_cvt_f32_u32_e32 v4, s18
	s_sub_co_i32 s20, 0, s18
	s_delay_alu instid0(VALU_DEP_1) | instskip(NEXT) | instid1(TRANS32_DEP_1)
	v_rcp_iflag_f32_e32 v4, v4
	v_mul_f32_e32 v4, 0x4f7ffffe, v4
	s_delay_alu instid0(VALU_DEP_1) | instskip(SKIP_1) | instid1(VALU_DEP_1)
	v_cvt_u32_f32_e32 v4, v4
	s_wait_alu 0xfffe
	v_mul_lo_u32 v7, s20, v4
	s_delay_alu instid0(VALU_DEP_1) | instskip(NEXT) | instid1(VALU_DEP_1)
	v_mul_hi_u32 v7, v4, v7
	v_add_nc_u32_e32 v4, v4, v7
	s_delay_alu instid0(VALU_DEP_1) | instskip(NEXT) | instid1(VALU_DEP_1)
	v_mul_hi_u32 v4, v5, v4
	v_mul_lo_u32 v7, v4, s18
	v_add_nc_u32_e32 v8, 1, v4
	s_delay_alu instid0(VALU_DEP_2) | instskip(NEXT) | instid1(VALU_DEP_1)
	v_sub_nc_u32_e32 v7, v5, v7
	v_subrev_nc_u32_e32 v10, s18, v7
	v_cmp_le_u32_e32 vcc_lo, s18, v7
	s_wait_alu 0xfffd
	s_delay_alu instid0(VALU_DEP_2) | instskip(NEXT) | instid1(VALU_DEP_1)
	v_dual_cndmask_b32 v7, v7, v10 :: v_dual_cndmask_b32 v4, v4, v8
	v_cmp_le_u32_e32 vcc_lo, s18, v7
	s_delay_alu instid0(VALU_DEP_2) | instskip(SKIP_1) | instid1(VALU_DEP_1)
	v_add_nc_u32_e32 v8, 1, v4
	s_wait_alu 0xfffd
	v_dual_cndmask_b32 v7, v4, v8 :: v_dual_mov_b32 v8, v3
.LBB0_6:                                ;   in Loop: Header=BB0_2 Depth=1
	s_wait_alu 0xfffe
	s_or_b32 exec_lo, exec_lo, s2
	s_load_b64 s[20:21], s[12:13], 0x0
	s_delay_alu instid0(VALU_DEP_1)
	v_mul_lo_u32 v4, v8, s18
	v_mul_lo_u32 v12, v7, s19
	v_mad_co_u64_u32 v[10:11], null, v7, s18, 0
	s_add_nc_u64 s[14:15], s[14:15], 1
	s_add_nc_u64 s[12:13], s[12:13], 8
	s_wait_alu 0xfffe
	v_cmp_ge_u64_e64 s2, s[14:15], s[6:7]
	s_add_nc_u64 s[16:17], s[16:17], 8
	s_delay_alu instid0(VALU_DEP_2) | instskip(NEXT) | instid1(VALU_DEP_3)
	v_add3_u32 v4, v11, v12, v4
	v_sub_co_u32 v5, vcc_lo, v5, v10
	s_wait_alu 0xfffd
	s_delay_alu instid0(VALU_DEP_2) | instskip(SKIP_3) | instid1(VALU_DEP_2)
	v_sub_co_ci_u32_e32 v4, vcc_lo, v6, v4, vcc_lo
	s_and_b32 vcc_lo, exec_lo, s2
	s_wait_kmcnt 0x0
	v_mul_lo_u32 v6, s21, v5
	v_mul_lo_u32 v4, s20, v4
	v_mad_co_u64_u32 v[1:2], null, s20, v5, v[1:2]
	s_delay_alu instid0(VALU_DEP_1)
	v_add3_u32 v2, v6, v2, v4
	s_wait_alu 0xfffe
	s_cbranch_vccnz .LBB0_9
; %bb.7:                                ;   in Loop: Header=BB0_2 Depth=1
	v_dual_mov_b32 v5, v7 :: v_dual_mov_b32 v6, v8
	s_branch .LBB0_2
.LBB0_8:
	v_dual_mov_b32 v8, v6 :: v_dual_mov_b32 v7, v5
.LBB0_9:
	s_lshl_b64 s[2:3], s[6:7], 3
	v_mul_u32_u24_e32 v69, 0x1e1, v9
	s_wait_alu 0xfffe
	s_add_nc_u64 s[2:3], s[10:11], s[2:3]
	v_and_b32_e32 v60, 15, v0
	s_load_b64 s[2:3], s[2:3], 0x0
	s_load_b64 s[0:1], s[0:1], 0x20
	v_lshlrev_b32_e32 v71, 3, v69
	s_wait_kmcnt 0x0
	v_mul_lo_u32 v3, s2, v8
	v_mul_lo_u32 v4, s3, v7
	v_mad_co_u64_u32 v[1:2], null, s2, v7, v[1:2]
	v_cmp_gt_u64_e32 vcc_lo, s[0:1], v[7:8]
	s_delay_alu instid0(VALU_DEP_2) | instskip(NEXT) | instid1(VALU_DEP_1)
	v_add3_u32 v2, v4, v2, v3
	v_lshlrev_b64_e32 v[62:63], 3, v[1:2]
	s_and_saveexec_b32 s1, vcc_lo
	s_cbranch_execz .LBB0_13
; %bb.10:
	v_lshlrev_b32_e32 v61, 3, v60
	s_delay_alu instid0(VALU_DEP_2) | instskip(SKIP_3) | instid1(VALU_DEP_2)
	v_add_co_u32 v0, s0, s8, v62
	s_wait_alu 0xf1ff
	v_add_co_ci_u32_e64 v1, s0, s9, v63, s0
	s_mov_b32 s2, exec_lo
	v_add_co_u32 v2, s0, v0, v61
	s_wait_alu 0xf1ff
	s_delay_alu instid0(VALU_DEP_2)
	v_add_co_ci_u32_e64 v3, s0, 0, v1, s0
	s_clause 0x1d
	global_load_b64 v[4:5], v[2:3], off
	global_load_b64 v[6:7], v[2:3], off offset:128
	global_load_b64 v[8:9], v[2:3], off offset:256
	;; [unrolled: 1-line block ×29, first 2 shown]
	v_add3_u32 v2, 0, v71, v61
	s_delay_alu instid0(VALU_DEP_1)
	v_add_nc_u32_e32 v3, 0x800, v2
	s_wait_loadcnt 0x1c
	ds_store_2addr_b64 v2, v[4:5], v[6:7] offset1:16
	s_wait_loadcnt 0x1a
	ds_store_2addr_b64 v2, v[8:9], v[10:11] offset0:32 offset1:48
	s_wait_loadcnt 0x18
	ds_store_2addr_b64 v2, v[12:13], v[14:15] offset0:64 offset1:80
	s_wait_loadcnt 0x16
	ds_store_2addr_b64 v2, v[16:17], v[18:19] offset0:96 offset1:112
	s_wait_loadcnt 0x14
	ds_store_2addr_b64 v2, v[20:21], v[22:23] offset0:128 offset1:144
	s_wait_loadcnt 0x12
	ds_store_2addr_b64 v2, v[24:25], v[26:27] offset0:160 offset1:176
	s_wait_loadcnt 0x10
	ds_store_2addr_b64 v2, v[28:29], v[30:31] offset0:192 offset1:208
	s_wait_loadcnt 0xe
	ds_store_2addr_b64 v2, v[32:33], v[34:35] offset0:224 offset1:240
	s_wait_loadcnt 0xc
	ds_store_2addr_b64 v3, v[36:37], v[38:39] offset1:16
	s_wait_loadcnt 0xa
	ds_store_2addr_b64 v3, v[40:41], v[42:43] offset0:32 offset1:48
	s_wait_loadcnt 0x8
	ds_store_2addr_b64 v3, v[44:45], v[46:47] offset0:64 offset1:80
	;; [unrolled: 2-line block ×6, first 2 shown]
	v_cmpx_eq_u32_e32 15, v60
	s_cbranch_execz .LBB0_12
; %bb.11:
	global_load_b64 v[0:1], v[0:1], off offset:3840
	v_mov_b32_e32 v60, 15
	s_wait_loadcnt 0x0
	ds_store_b64 v2, v[0:1] offset:3720
.LBB0_12:
	s_wait_alu 0xfffe
	s_or_b32 exec_lo, exec_lo, s2
.LBB0_13:
	s_wait_alu 0xfffe
	s_or_b32 exec_lo, exec_lo, s1
	v_lshl_add_u32 v68, v69, 3, 0
	v_lshlrev_b32_e32 v4, 3, v60
	global_wb scope:SCOPE_SE
	s_wait_dscnt 0x0
	s_barrier_signal -1
	s_barrier_wait -1
	global_inv scope:SCOPE_SE
	v_add_nc_u32_e32 v70, v68, v4
	v_sub_nc_u32_e32 v6, v68, v4
	v_cmp_ne_u32_e64 s0, 0, v60
                                        ; implicit-def: $vgpr2_vgpr3
	ds_load_b32 v5, v70
	ds_load_b32 v7, v6 offset:3840
	s_wait_dscnt 0x0
	v_dual_sub_f32 v1, v5, v7 :: v_dual_add_f32 v0, v7, v5
	s_and_saveexec_b32 s1, s0
	s_wait_alu 0xfffe
	s_xor_b32 s0, exec_lo, s1
	s_cbranch_execz .LBB0_15
; %bb.14:
	global_load_b64 v[2:3], v4, s[4:5] offset:3760
	ds_load_b32 v0, v6 offset:3844
	ds_load_b32 v1, v70 offset:4
	v_dual_add_f32 v4, v7, v5 :: v_dual_sub_f32 v7, v5, v7
	s_wait_dscnt 0x0
	v_dual_mov_b32 v61, 0 :: v_dual_add_f32 v8, v0, v1
	v_sub_f32_e32 v0, v1, v0
	s_wait_loadcnt 0x0
	s_delay_alu instid0(VALU_DEP_1) | instskip(SKIP_2) | instid1(VALU_DEP_3)
	v_fma_f32 v1, v8, v3, v0
	v_fma_f32 v9, v7, v3, v4
	v_fma_f32 v4, -v7, v3, v4
	v_fmac_f32_e32 v1, v7, v2
	v_fma_f32 v5, v8, v3, -v0
	s_delay_alu instid0(VALU_DEP_3) | instskip(SKIP_1) | instid1(VALU_DEP_3)
	v_fmac_f32_e32 v4, v2, v8
	v_fma_f32 v0, -v2, v8, v9
	v_dual_fmac_f32 v5, v7, v2 :: v_dual_mov_b32 v2, v60
	v_mov_b32_e32 v3, v61
	ds_store_b64 v6, v[4:5] offset:3840
.LBB0_15:
	s_wait_alu 0xfffe
	s_and_not1_saveexec_b32 s0, s0
	s_cbranch_execz .LBB0_17
; %bb.16:
	ds_load_b64 v[2:3], v68 offset:1920
	s_wait_dscnt 0x0
	v_dual_add_f32 v4, v2, v2 :: v_dual_mul_f32 v5, -2.0, v3
	v_mov_b32_e32 v2, 0
	v_mov_b32_e32 v3, 0
	ds_store_b64 v68, v[4:5] offset:1920
.LBB0_17:
	s_wait_alu 0xfffe
	s_or_b32 exec_lo, exec_lo, s0
	v_lshlrev_b64_e32 v[2:3], 3, v[2:3]
	s_add_nc_u64 s[0:1], s[4:5], 0xeb0
	v_lshl_add_u32 v61, v60, 3, 0
	s_wait_alu 0xfffe
	s_delay_alu instid0(VALU_DEP_2)
	v_add_co_u32 v2, s0, s0, v2
	s_wait_alu 0xf1ff
	v_add_co_ci_u32_e64 v3, s0, s1, v3, s0
	v_cmp_gt_u32_e64 s0, 12, v60
	s_clause 0x6
	global_load_b64 v[4:5], v[2:3], off offset:128
	global_load_b64 v[7:8], v[2:3], off offset:256
	;; [unrolled: 1-line block ×7, first 2 shown]
	ds_store_b64 v70, v[0:1]
	ds_load_b64 v[0:1], v70 offset:128
	ds_load_b64 v[19:20], v6 offset:3712
	global_load_b64 v[21:22], v[2:3], off offset:1024
	v_add_nc_u32_e32 v72, v61, v71
	s_delay_alu instid0(VALU_DEP_1)
	v_add_nc_u32_e32 v73, 0x800, v72
	s_wait_dscnt 0x0
	v_add_f32_e32 v23, v0, v19
	v_sub_f32_e32 v25, v0, v19
	v_add_f32_e32 v24, v20, v1
	v_sub_f32_e32 v0, v1, v20
	s_wait_loadcnt 0x7
	s_delay_alu instid0(VALU_DEP_1) | instskip(SKIP_2) | instid1(VALU_DEP_3)
	v_fma_f32 v1, v24, v5, v0
	v_fma_f32 v26, v25, v5, v23
	v_fma_f32 v19, -v25, v5, v23
	v_fmac_f32_e32 v1, v25, v4
	v_fma_f32 v20, v24, v5, -v0
	s_delay_alu instid0(VALU_DEP_4) | instskip(NEXT) | instid1(VALU_DEP_4)
	v_fma_f32 v0, -v4, v24, v26
	v_fmac_f32_e32 v19, v4, v24
	s_delay_alu instid0(VALU_DEP_3)
	v_fmac_f32_e32 v20, v25, v4
	ds_store_b64 v70, v[0:1] offset:128
	ds_store_b64 v6, v[19:20] offset:3712
	ds_load_b64 v[0:1], v70 offset:256
	ds_load_b64 v[4:5], v6 offset:3584
	global_load_b64 v[19:20], v[2:3], off offset:1152
	s_wait_dscnt 0x0
	v_dual_add_f32 v23, v0, v4 :: v_dual_add_f32 v24, v5, v1
	v_dual_sub_f32 v25, v0, v4 :: v_dual_sub_f32 v0, v1, v5
	s_wait_loadcnt 0x7
	s_delay_alu instid0(VALU_DEP_1) | instskip(NEXT) | instid1(VALU_DEP_2)
	v_fma_f32 v26, v25, v8, v23
	v_fma_f32 v1, v24, v8, v0
	v_fma_f32 v4, -v25, v8, v23
	v_fma_f32 v5, v24, v8, -v0
	s_delay_alu instid0(VALU_DEP_4) | instskip(NEXT) | instid1(VALU_DEP_3)
	v_fma_f32 v0, -v7, v24, v26
	v_dual_fmac_f32 v1, v25, v7 :: v_dual_fmac_f32 v4, v7, v24
	s_delay_alu instid0(VALU_DEP_3)
	v_fmac_f32_e32 v5, v25, v7
	ds_store_b64 v70, v[0:1] offset:256
	ds_store_b64 v6, v[4:5] offset:3584
	ds_load_b64 v[0:1], v70 offset:384
	ds_load_b64 v[4:5], v6 offset:3456
	global_load_b64 v[7:8], v[2:3], off offset:1280
	s_wait_dscnt 0x0
	v_dual_add_f32 v23, v0, v4 :: v_dual_add_f32 v24, v5, v1
	v_dual_sub_f32 v25, v0, v4 :: v_dual_sub_f32 v0, v1, v5
	s_wait_loadcnt 0x7
	s_delay_alu instid0(VALU_DEP_1) | instskip(NEXT) | instid1(VALU_DEP_2)
	v_fma_f32 v26, v25, v10, v23
	v_fma_f32 v1, v24, v10, v0
	v_fma_f32 v4, -v25, v10, v23
	v_fma_f32 v5, v24, v10, -v0
	s_delay_alu instid0(VALU_DEP_4) | instskip(NEXT) | instid1(VALU_DEP_4)
	v_fma_f32 v0, -v9, v24, v26
	v_fmac_f32_e32 v1, v25, v9
	s_delay_alu instid0(VALU_DEP_4) | instskip(NEXT) | instid1(VALU_DEP_4)
	v_fmac_f32_e32 v4, v9, v24
	v_fmac_f32_e32 v5, v25, v9
	ds_store_b64 v70, v[0:1] offset:384
	ds_store_b64 v6, v[4:5] offset:3456
	ds_load_b64 v[0:1], v70 offset:512
	ds_load_b64 v[4:5], v6 offset:3328
	global_load_b64 v[9:10], v[2:3], off offset:1408
	s_wait_dscnt 0x0
	v_dual_add_f32 v23, v0, v4 :: v_dual_add_f32 v24, v5, v1
	v_dual_sub_f32 v25, v0, v4 :: v_dual_sub_f32 v0, v1, v5
	s_wait_loadcnt 0x7
	s_delay_alu instid0(VALU_DEP_1) | instskip(NEXT) | instid1(VALU_DEP_2)
	v_fma_f32 v26, v25, v12, v23
	v_fma_f32 v1, v24, v12, v0
	v_fma_f32 v4, -v25, v12, v23
	v_fma_f32 v5, v24, v12, -v0
	s_delay_alu instid0(VALU_DEP_4) | instskip(NEXT) | instid1(VALU_DEP_3)
	v_fma_f32 v0, -v11, v24, v26
	v_dual_fmac_f32 v1, v25, v11 :: v_dual_fmac_f32 v4, v11, v24
	s_delay_alu instid0(VALU_DEP_3)
	v_fmac_f32_e32 v5, v25, v11
	ds_store_b64 v70, v[0:1] offset:512
	ds_store_b64 v6, v[4:5] offset:3328
	ds_load_b64 v[0:1], v70 offset:640
	ds_load_b64 v[4:5], v6 offset:3200
	global_load_b64 v[11:12], v[2:3], off offset:1536
	s_wait_dscnt 0x0
	v_dual_add_f32 v23, v0, v4 :: v_dual_add_f32 v24, v5, v1
	v_dual_sub_f32 v25, v0, v4 :: v_dual_sub_f32 v0, v1, v5
	s_wait_loadcnt 0x7
	s_delay_alu instid0(VALU_DEP_1) | instskip(NEXT) | instid1(VALU_DEP_2)
	v_fma_f32 v26, v25, v14, v23
	v_fma_f32 v1, v24, v14, v0
	v_fma_f32 v4, -v25, v14, v23
	v_fma_f32 v5, v24, v14, -v0
	s_delay_alu instid0(VALU_DEP_4) | instskip(NEXT) | instid1(VALU_DEP_4)
	v_fma_f32 v0, -v13, v24, v26
	v_fmac_f32_e32 v1, v25, v13
	s_delay_alu instid0(VALU_DEP_4) | instskip(NEXT) | instid1(VALU_DEP_4)
	v_fmac_f32_e32 v4, v13, v24
	v_fmac_f32_e32 v5, v25, v13
	ds_store_b64 v70, v[0:1] offset:640
	ds_store_b64 v6, v[4:5] offset:3200
	ds_load_b64 v[0:1], v70 offset:768
	ds_load_b64 v[4:5], v6 offset:3072
	global_load_b64 v[13:14], v[2:3], off offset:1664
	s_wait_dscnt 0x0
	v_dual_add_f32 v23, v0, v4 :: v_dual_add_f32 v24, v5, v1
	v_dual_sub_f32 v25, v0, v4 :: v_dual_sub_f32 v0, v1, v5
	s_wait_loadcnt 0x7
	s_delay_alu instid0(VALU_DEP_1) | instskip(NEXT) | instid1(VALU_DEP_2)
	v_fma_f32 v26, v25, v16, v23
	v_fma_f32 v1, v24, v16, v0
	v_fma_f32 v4, -v25, v16, v23
	v_fma_f32 v5, v24, v16, -v0
	s_delay_alu instid0(VALU_DEP_4) | instskip(NEXT) | instid1(VALU_DEP_3)
	v_fma_f32 v0, -v15, v24, v26
	v_dual_fmac_f32 v1, v25, v15 :: v_dual_fmac_f32 v4, v15, v24
	s_delay_alu instid0(VALU_DEP_3)
	v_fmac_f32_e32 v5, v25, v15
	ds_store_b64 v70, v[0:1] offset:768
	ds_store_b64 v6, v[4:5] offset:3072
	ds_load_b64 v[4:5], v70 offset:896
	ds_load_b64 v[15:16], v6 offset:2944
	global_load_b64 v[0:1], v[2:3], off offset:1792
	s_wait_dscnt 0x0
	v_add_f32_e32 v2, v4, v15
	v_add_f32_e32 v23, v16, v5
	v_sub_f32_e32 v15, v4, v15
	v_sub_f32_e32 v5, v5, v16
	s_wait_loadcnt 0x7
	s_delay_alu instid0(VALU_DEP_2) | instskip(NEXT) | instid1(VALU_DEP_2)
	v_fma_f32 v16, v15, v18, v2
	v_fma_f32 v3, v23, v18, v5
	v_fma_f32 v4, -v15, v18, v2
	v_fma_f32 v5, v23, v18, -v5
	s_delay_alu instid0(VALU_DEP_4) | instskip(NEXT) | instid1(VALU_DEP_3)
	v_fma_f32 v2, -v17, v23, v16
	v_dual_fmac_f32 v3, v15, v17 :: v_dual_fmac_f32 v4, v17, v23
	s_delay_alu instid0(VALU_DEP_3)
	v_fmac_f32_e32 v5, v15, v17
	ds_store_b64 v70, v[2:3] offset:896
	ds_store_b64 v6, v[4:5] offset:2944
	ds_load_b64 v[2:3], v70 offset:1024
	ds_load_b64 v[4:5], v6 offset:2816
	s_wait_dscnt 0x0
	v_dual_add_f32 v15, v2, v4 :: v_dual_add_f32 v16, v5, v3
	v_dual_sub_f32 v17, v2, v4 :: v_dual_sub_f32 v2, v3, v5
	s_wait_loadcnt 0x6
	s_delay_alu instid0(VALU_DEP_1) | instskip(NEXT) | instid1(VALU_DEP_2)
	v_fma_f32 v18, v17, v22, v15
	v_fma_f32 v3, v16, v22, v2
	v_fma_f32 v4, -v17, v22, v15
	v_fma_f32 v5, v16, v22, -v2
	s_delay_alu instid0(VALU_DEP_4) | instskip(NEXT) | instid1(VALU_DEP_4)
	v_fma_f32 v2, -v21, v16, v18
	v_fmac_f32_e32 v3, v17, v21
	s_delay_alu instid0(VALU_DEP_4) | instskip(NEXT) | instid1(VALU_DEP_4)
	v_fmac_f32_e32 v4, v21, v16
	v_fmac_f32_e32 v5, v17, v21
	ds_store_b64 v70, v[2:3] offset:1024
	ds_store_b64 v6, v[4:5] offset:2816
	ds_load_b64 v[2:3], v70 offset:1152
	ds_load_b64 v[4:5], v6 offset:2688
	s_wait_dscnt 0x0
	v_dual_add_f32 v15, v2, v4 :: v_dual_add_f32 v16, v5, v3
	v_dual_sub_f32 v17, v2, v4 :: v_dual_sub_f32 v2, v3, v5
	s_wait_loadcnt 0x5
	s_delay_alu instid0(VALU_DEP_1) | instskip(NEXT) | instid1(VALU_DEP_2)
	v_fma_f32 v18, v17, v20, v15
	v_fma_f32 v3, v16, v20, v2
	v_fma_f32 v4, -v17, v20, v15
	v_fma_f32 v5, v16, v20, -v2
	s_delay_alu instid0(VALU_DEP_4) | instskip(NEXT) | instid1(VALU_DEP_3)
	v_fma_f32 v2, -v19, v16, v18
	v_dual_fmac_f32 v3, v17, v19 :: v_dual_fmac_f32 v4, v19, v16
	s_delay_alu instid0(VALU_DEP_3)
	v_fmac_f32_e32 v5, v17, v19
	ds_store_b64 v70, v[2:3] offset:1152
	ds_store_b64 v6, v[4:5] offset:2688
	ds_load_b64 v[2:3], v70 offset:1280
	ds_load_b64 v[4:5], v6 offset:2560
	s_wait_dscnt 0x0
	v_dual_add_f32 v15, v2, v4 :: v_dual_add_f32 v16, v5, v3
	v_dual_sub_f32 v17, v2, v4 :: v_dual_sub_f32 v2, v3, v5
	s_wait_loadcnt 0x4
	s_delay_alu instid0(VALU_DEP_1) | instskip(NEXT) | instid1(VALU_DEP_2)
	v_fma_f32 v18, v17, v8, v15
	v_fma_f32 v3, v16, v8, v2
	v_fma_f32 v4, -v17, v8, v15
	v_fma_f32 v5, v16, v8, -v2
	s_delay_alu instid0(VALU_DEP_4) | instskip(NEXT) | instid1(VALU_DEP_3)
	v_fma_f32 v2, -v7, v16, v18
	v_dual_fmac_f32 v3, v17, v7 :: v_dual_fmac_f32 v4, v7, v16
	s_delay_alu instid0(VALU_DEP_3)
	;; [unrolled: 18-line block ×4, first 2 shown]
	v_fmac_f32_e32 v5, v9, v11
	ds_store_b64 v70, v[2:3] offset:1536
	ds_store_b64 v6, v[4:5] offset:2304
	ds_load_b64 v[2:3], v70 offset:1664
	ds_load_b64 v[4:5], v6 offset:2176
	s_wait_dscnt 0x0
	v_dual_add_f32 v7, v2, v4 :: v_dual_add_f32 v8, v5, v3
	v_dual_sub_f32 v9, v2, v4 :: v_dual_sub_f32 v2, v3, v5
	s_wait_loadcnt 0x1
	s_delay_alu instid0(VALU_DEP_1) | instskip(NEXT) | instid1(VALU_DEP_2)
	v_fma_f32 v10, v9, v14, v7
	v_fma_f32 v3, v8, v14, v2
	v_fma_f32 v4, -v9, v14, v7
	v_fma_f32 v5, v8, v14, -v2
	v_mul_u32_u24_e32 v7, 10, v60
	v_fma_f32 v2, -v13, v8, v10
	v_fmac_f32_e32 v3, v9, v13
	v_fmac_f32_e32 v4, v13, v8
	;; [unrolled: 1-line block ×3, first 2 shown]
	ds_store_b64 v70, v[2:3] offset:1664
	ds_store_b64 v6, v[4:5] offset:2176
	ds_load_b64 v[2:3], v70 offset:1792
	ds_load_b64 v[4:5], v6 offset:2048
	s_wait_dscnt 0x0
	v_dual_add_f32 v8, v2, v4 :: v_dual_add_f32 v9, v5, v3
	v_sub_f32_e32 v10, v2, v4
	v_dual_sub_f32 v4, v3, v5 :: v_dual_lshlrev_b32 v5, 3, v7
	v_add_nc_u32_e32 v7, 0x400, v72
	s_wait_loadcnt 0x0
	s_delay_alu instid0(VALU_DEP_3) | instskip(NEXT) | instid1(VALU_DEP_3)
	v_fma_f32 v11, v10, v1, v8
	v_fma_f32 v2, v9, v1, v4
	v_fma_f32 v3, -v10, v1, v8
	v_fma_f32 v4, v9, v1, -v4
	s_delay_alu instid0(VALU_DEP_4) | instskip(NEXT) | instid1(VALU_DEP_3)
	v_fma_f32 v1, -v0, v9, v11
	v_dual_fmac_f32 v2, v10, v0 :: v_dual_fmac_f32 v3, v0, v9
	s_delay_alu instid0(VALU_DEP_3)
	v_fmac_f32_e32 v4, v10, v0
	ds_store_b64 v70, v[1:2] offset:1792
	ds_store_b64 v6, v[3:4] offset:2048
	global_wb scope:SCOPE_SE
	s_wait_dscnt 0x0
	s_barrier_signal -1
	s_barrier_wait -1
	global_inv scope:SCOPE_SE
	global_wb scope:SCOPE_SE
	s_barrier_signal -1
	s_barrier_wait -1
	global_inv scope:SCOPE_SE
	ds_load_2addr_b64 v[1:4], v72 offset0:48 offset1:64
	ds_load_2addr_b64 v[22:25], v72 offset0:144 offset1:160
	;; [unrolled: 1-line block ×5, first 2 shown]
	s_wait_dscnt 0x3
	v_dual_add_f32 v0, v1, v22 :: v_dual_add_f32 v85, v2, v23
	s_wait_dscnt 0x2
	v_sub_f32_e32 v110, v24, v28
	s_wait_dscnt 0x0
	v_add_f32_e32 v90, v23, v35
	ds_load_2addr_b64 v[6:9], v72 offset0:16 offset1:32
	ds_load_2addr_b64 v[38:41], v72 offset0:112 offset1:128
	;; [unrolled: 1-line block ×9, first 2 shown]
	ds_load_b64 v[14:15], v70
	ds_load_b64 v[58:59], v72 offset:3712
	v_dual_sub_f32 v81, v34, v30 :: v_dual_add_f32 v106, v3, v24
	v_sub_f32_e32 v78, v23, v35
	v_dual_sub_f32 v79, v27, v31 :: v_dual_sub_f32 v80, v22, v26
	v_dual_sub_f32 v83, v26, v22 :: v_dual_sub_f32 v108, v25, v37
	v_dual_add_f32 v86, v27, v31 :: v_dual_sub_f32 v87, v26, v30
	v_sub_f32_e32 v112, v28, v24
	s_wait_dscnt 0x8
	v_dual_add_f32 v124, v9, v41 :: v_dual_sub_f32 v99, v42, v38
	v_sub_f32_e32 v88, v23, v27
	v_dual_sub_f32 v23, v27, v23 :: v_dual_sub_f32 v116, v25, v29
	v_add_f32_e32 v92, v6, v38
	v_sub_f32_e32 v96, v38, v42
	v_add3_u32 v16, 0, v5, v71
	v_dual_add_f32 v5, v26, v30 :: v_dual_sub_f32 v104, v39, v43
	s_wait_dscnt 0x7
	v_dual_sub_f32 v103, v42, v46 :: v_dual_sub_f32 v128, v45, v41
	s_wait_dscnt 0x3
	v_dual_sub_f32 v111, v36, v32 :: v_dual_sub_f32 v136, v57, v67
	v_dual_add_f32 v113, v4, v25 :: v_dual_add_f32 v138, v57, v67
	v_dual_sub_f32 v117, v29, v25 :: v_dual_sub_f32 v140, v54, v64
	v_dual_add_f32 v25, v25, v37 :: v_dual_add_f32 v0, v0, v26
	v_dual_add_f32 v119, v8, v40 :: v_dual_add_f32 v26, v85, v27
	v_sub_f32_e32 v121, v45, v49
	v_add_f32_e32 v125, v45, v49
	v_sub_f32_e32 v127, v41, v45
	v_add_f32_e32 v135, v56, v66
	v_add_f32_e32 v27, v106, v28
	v_sub_f32_e32 v106, v56, v12
	v_dual_add_f32 v45, v124, v45 :: v_dual_add_f32 v110, v110, v111
	s_wait_dscnt 0x2
	v_sub_f32_e32 v124, v66, v76
	v_sub_f32_e32 v84, v30, v34
	v_add_f32_e32 v93, v42, v46
	s_wait_dscnt 0x1
	v_dual_add_f32 v107, v28, v32 :: v_dual_add_f32 v132, v15, v13
	v_add_f32_e32 v131, v14, v12
	v_dual_sub_f32 v137, v76, v66 :: v_dual_add_f32 v106, v106, v124
	v_dual_sub_f32 v139, v56, v66 :: v_dual_sub_f32 v124, v67, v77
	v_add_f32_e32 v42, v92, v42
	v_dual_sub_f32 v92, v57, v13 :: v_dual_sub_f32 v89, v35, v31
	v_dual_add_f32 v114, v29, v33 :: v_dual_sub_f32 v97, v50, v46
	v_dual_sub_f32 v122, v40, v44 :: v_dual_add_f32 v101, v7, v39
	v_dual_sub_f32 v126, v44, v48 :: v_dual_sub_f32 v109, v29, v33
	v_dual_add_f32 v134, v11, v55 :: v_dual_sub_f32 v115, v28, v32
	v_dual_sub_f32 v142, v55, v65 :: v_dual_sub_f32 v123, v44, v40
	v_dual_add_f32 v28, v113, v29 :: v_dual_add_f32 v133, v10, v54
	v_sub_f32_e32 v141, v64, v54
	v_dual_sub_f32 v29, v65, v55 :: v_dual_add_f32 v92, v92, v124
	v_sub_f32_e32 v85, v12, v56
	v_dual_sub_f32 v113, v13, v57 :: v_dual_sub_f32 v124, v51, v47
	v_add_f32_e32 v83, v83, v84
	v_sub_f32_e32 v84, v52, v48
	v_dual_add_f32 v57, v132, v57 :: v_dual_sub_f32 v132, v77, v67
	v_dual_add_f32 v102, v43, v47 :: v_dual_add_nc_u32 v21, 0xa40, v16
	v_sub_f32_e32 v94, v39, v51
	v_dual_sub_f32 v95, v43, v47 :: v_dual_add_f32 v120, v44, v48
	v_dual_add_f32 v105, v39, v51 :: v_dual_add_f32 v130, v40, v52
	v_dual_sub_f32 v39, v43, v39 :: v_dual_sub_f32 v40, v40, v52
	v_sub_f32_e32 v129, v41, v53
	v_dual_add_f32 v41, v41, v53 :: v_dual_add_f32 v56, v131, v56
	v_dual_add_f32 v43, v101, v43 :: v_dual_add_f32 v80, v80, v81
	v_sub_f32_e32 v131, v32, v36
	v_add_f32_e32 v113, v113, v132
	v_dual_sub_f32 v132, v37, v33 :: v_dual_sub_f32 v81, v47, v51
	v_add_f32_e32 v104, v104, v124
	v_sub_f32_e32 v124, v65, v75
	v_fma_f32 v114, -0.5, v114, v4
	v_fmac_f32_e32 v4, -0.5, v25
	v_dual_add_f32 v85, v85, v137 :: v_dual_add_f32 v112, v112, v131
	v_dual_add_f32 v137, v13, v77 :: v_dual_add_f32 v116, v116, v132
	v_dual_add_f32 v98, v38, v50 :: v_dual_add_nc_u32 v17, 0xa00, v16
	v_dual_sub_f32 v100, v46, v50 :: v_dual_add_nc_u32 v19, 0xa20, v16
	v_dual_add_f32 v82, v22, v34 :: v_dual_sub_f32 v91, v31, v35
	v_add_f32_e32 v118, v24, v36
	v_add_f32_e32 v44, v119, v44
	v_fma_f32 v138, -0.5, v138, v15
	v_fmac_f32_e32 v15, -0.5, v137
	v_fma_f32 v5, -0.5, v5, v1
	v_add_f32_e32 v131, v12, v76
	v_sub_f32_e32 v12, v12, v76
	s_wait_dscnt 0x0
	v_dual_sub_f32 v24, v24, v36 :: v_dual_sub_f32 v101, v55, v59
	v_dual_add_f32 v88, v88, v89 :: v_dual_add_f32 v55, v55, v59
	v_sub_f32_e32 v89, v48, v52
	v_add_f32_e32 v91, v23, v91
	v_sub_f32_e32 v23, v53, v49
	v_dual_add_f32 v99, v99, v100 :: v_dual_add_f32 v100, v64, v74
	v_sub_f32_e32 v13, v13, v77
	v_fma_f32 v1, -0.5, v82, v1
	v_fma_f32 v82, -0.5, v86, v2
	;; [unrolled: 1-line block ×8, first 2 shown]
	v_dual_add_f32 v2, v26, v31 :: v_dual_add_f32 v3, v27, v32
	v_add_f32_e32 v27, v44, v48
	v_fmamk_f32 v44, v12, 0xbf737871, v138
	v_dual_sub_f32 v111, v64, v74 :: v_dual_add_f32 v64, v133, v64
	v_add_f32_e32 v39, v39, v81
	v_add_f32_e32 v81, v65, v75
	v_dual_add_f32 v119, v54, v58 :: v_dual_add_f32 v96, v96, v97
	v_dual_sub_f32 v137, v33, v37 :: v_dual_add_f32 v0, v0, v30
	v_dual_sub_f32 v97, v49, v53 :: v_dual_add_f32 v30, v56, v66
	v_sub_f32_e32 v25, v58, v74
	v_fma_f32 v81, -0.5, v81, v11
	v_fmac_f32_e32 v11, -0.5, v55
	v_fma_f32 v55, -0.5, v135, v14
	v_add_f32_e32 v26, v43, v47
	v_dual_add_f32 v127, v127, v23 :: v_dual_fmamk_f32 v56, v94, 0x3f737871, v90
	v_dual_sub_f32 v23, v75, v59 :: v_dual_fmac_f32 v90, 0xbf737871, v94
	v_sub_f32_e32 v22, v22, v34
	v_dual_sub_f32 v38, v38, v50 :: v_dual_add_f32 v117, v117, v137
	v_dual_fmac_f32 v138, 0x3f737871, v12 :: v_dual_add_f32 v65, v134, v65
	v_fma_f32 v125, -0.5, v125, v9
	v_dual_fmac_f32 v9, -0.5, v41 :: v_dual_fmamk_f32 v66, v108, 0x3f737871, v98
	v_add_f32_e32 v41, v128, v97
	v_add_f32_e32 v29, v29, v23
	v_fma_f32 v7, -0.5, v105, v7
	v_fma_f32 v105, -0.5, v120, v8
	;; [unrolled: 1-line block ×4, first 2 shown]
	v_add_f32_e32 v23, v28, v33
	v_add_f32_e32 v28, v45, v49
	;; [unrolled: 1-line block ×3, first 2 shown]
	v_dual_fmamk_f32 v118, v121, 0xbf737871, v8 :: v_dual_fmamk_f32 v47, v79, 0xbf737871, v1
	v_dual_fmamk_f32 v49, v87, 0x3f737871, v86 :: v_dual_fmamk_f32 v120, v126, 0x3f737871, v9
	v_dual_fmac_f32 v86, 0xbf737871, v87 :: v_dual_add_f32 v97, v140, v25
	v_dual_fmac_f32 v98, 0xbf737871, v108 :: v_dual_add_f32 v25, v42, v46
	v_fmac_f32_e32 v8, 0x3f737871, v121
	v_fmamk_f32 v42, v13, 0x3f737871, v55
	v_fmamk_f32 v46, v78, 0x3f737871, v5
	v_fma_f32 v14, -0.5, v131, v14
	v_dual_add_f32 v2, v2, v35 :: v_dual_fmac_f32 v5, 0xbf737871, v78
	v_add_f32_e32 v52, v27, v52
	v_sub_f32_e32 v54, v54, v58
	v_add_f32_e32 v84, v122, v84
	v_dual_sub_f32 v122, v74, v58 :: v_dual_add_f32 v89, v123, v89
	v_dual_fmamk_f32 v48, v22, 0xbf737871, v82 :: v_dual_sub_f32 v123, v59, v75
	v_fmac_f32_e32 v82, 0x3f737871, v22
	v_fma_f32 v10, -0.5, v119, v10
	v_dual_add_f32 v31, v57, v67 :: v_dual_add_f32 v0, v0, v34
	v_dual_fmamk_f32 v43, v136, 0xbf737871, v14 :: v_dual_add_f32 v50, v25, v50
	v_dual_fmac_f32 v14, 0x3f737871, v136 :: v_dual_fmamk_f32 v45, v139, 0x3f737871, v15
	v_fmac_f32_e32 v15, 0xbf737871, v139
	v_fmamk_f32 v57, v95, 0xbf737871, v6
	v_fmac_f32_e32 v6, 0x3f737871, v95
	v_dual_add_f32 v33, v65, v75 :: v_dual_add_f32 v34, v23, v37
	v_fmamk_f32 v74, v24, 0xbf737871, v114
	v_dual_fmamk_f32 v35, v101, 0x3f737871, v100 :: v_dual_fmamk_f32 v128, v111, 0x3f737871, v11
	v_dual_add_f32 v51, v26, v51 :: v_dual_fmac_f32 v42, 0x3f167918, v136
	v_dual_add_f32 v23, v30, v76 :: v_dual_fmac_f32 v138, 0x3f167918, v139
	v_dual_fmac_f32 v1, 0x3f737871, v79 :: v_dual_add_f32 v30, v32, v58
	v_dual_fmac_f32 v5, 0xbf167918, v79 :: v_dual_fmac_f32 v6, 0xbf167918, v94
	v_dual_fmac_f32 v47, 0x3f167918, v78 :: v_dual_fmac_f32 v66, 0x3f167918, v109
	v_fmac_f32_e32 v55, 0xbf737871, v13
	v_dual_fmamk_f32 v64, v38, 0xbf737871, v93 :: v_dual_fmamk_f32 v67, v109, 0xbf737871, v102
	v_fmac_f32_e32 v100, 0xbf737871, v101
	v_dual_add_f32 v53, v28, v53 :: v_dual_fmac_f32 v44, 0xbf167918, v139
	v_dual_add_f32 v25, v31, v77 :: v_dual_fmac_f32 v46, 0x3f167918, v79
	;; [unrolled: 1-line block ×3, first 2 shown]
	v_dual_fmac_f32 v43, 0x3f167918, v13 :: v_dual_fmac_f32 v82, 0x3f167918, v87
	v_fmac_f32_e32 v14, 0xbf167918, v13
	v_dual_fmac_f32 v15, 0x3f167918, v12 :: v_dual_fmac_f32 v56, 0x3f167918, v95
	v_dual_fmac_f32 v49, 0xbf167918, v22 :: v_dual_fmac_f32 v98, 0xbf167918, v109
	v_fmac_f32_e32 v128, 0xbf167918, v54
	v_dual_sub_f32 v27, v51, v34 :: v_dual_fmac_f32 v42, 0x3e9e377a, v85
	v_fmamk_f32 v75, v115, 0x3f737871, v4
	v_dual_fmac_f32 v4, 0xbf737871, v115 :: v_dual_add_f32 v3, v3, v36
	v_fmamk_f32 v65, v103, 0x3f737871, v7
	v_dual_fmac_f32 v7, 0xbf737871, v103 :: v_dual_add_f32 v28, v52, v30
	v_fmamk_f32 v36, v124, 0xbf737871, v10
	v_fmac_f32_e32 v10, 0x3f737871, v124
	v_dual_fmac_f32 v45, 0xbf167918, v12 :: v_dual_fmac_f32 v90, 0xbf167918, v95
	v_dual_add_f32 v12, v23, v0 :: v_dual_fmac_f32 v1, 0xbf167918, v78
	v_fmac_f32_e32 v64, 0xbf167918, v103
	v_dual_fmac_f32 v5, 0x3e9e377a, v80 :: v_dual_fmac_f32 v66, 0x3e9e377a, v110
	v_dual_add_f32 v122, v141, v122 :: v_dual_add_f32 v123, v142, v123
	v_dual_fmac_f32 v102, 0x3f737871, v109 :: v_dual_fmac_f32 v93, 0x3f737871, v38
	v_sub_f32_e32 v22, v23, v0
	v_fmac_f32_e32 v114, 0x3f737871, v24
	v_dual_fmac_f32 v55, 0xbf167918, v136 :: v_dual_fmac_f32 v48, 0xbf167918, v87
	v_dual_fmac_f32 v7, 0x3f167918, v38 :: v_dual_fmac_f32 v118, 0x3f167918, v129
	v_fmac_f32_e32 v36, 0x3f167918, v101
	v_dual_fmac_f32 v10, 0xbf167918, v101 :: v_dual_add_f32 v13, v25, v2
	v_dual_sub_f32 v23, v25, v2 :: v_dual_fmac_f32 v44, 0x3e9e377a, v113
	v_dual_sub_f32 v26, v50, v3 :: v_dual_fmac_f32 v65, 0xbf167918, v38
	v_fmac_f32_e32 v102, 0xbf167918, v108
	v_dual_fmac_f32 v1, 0x3e9e377a, v83 :: v_dual_fmac_f32 v82, 0x3e9e377a, v88
	v_dual_fmac_f32 v49, 0x3e9e377a, v91 :: v_dual_fmac_f32 v56, 0x3e9e377a, v96
	v_fmac_f32_e32 v128, 0x3e9e377a, v29
	v_dual_sub_f32 v2, v52, v30 :: v_dual_fmac_f32 v67, 0x3f167918, v108
	v_mul_f32_e32 v59, 0xbf167918, v66
	v_mul_f32_e32 v32, 0x3f4f1bbd, v5
	v_dual_fmac_f32 v55, 0x3e9e377a, v85 :: v_dual_fmac_f32 v14, 0x3e9e377a, v106
	v_dual_fmac_f32 v43, 0x3e9e377a, v106 :: v_dual_fmac_f32 v46, 0x3e9e377a, v80
	;; [unrolled: 1-line block ×6, first 2 shown]
	v_fmac_f32_e32 v36, 0x3e9e377a, v122
	v_mul_f32_e32 v39, 0x3f737871, v49
	v_mul_f32_e32 v77, 0x3f737871, v128
	v_fma_f32 v80, 0x3f167918, v82, -v32
	v_fmac_f32_e32 v9, 0xbf737871, v126
	v_mul_f32_e32 v52, 0x3f4f1bbd, v66
	v_mul_f32_e32 v79, 0xbf737871, v36
	v_fmac_f32_e32 v77, 0x3e9e377a, v36
	v_fmac_f32_e32 v39, 0x3e9e377a, v47
	v_fmamk_f32 v37, v54, 0xbf737871, v81
	v_fmac_f32_e32 v120, 0xbf167918, v40
	v_add_f32_e32 v36, v55, v80
	v_fmac_f32_e32 v9, 0x3f167918, v40
	v_dual_fmamk_f32 v107, v129, 0x3f737871, v105 :: v_dual_add_f32 v32, v43, v39
	s_delay_alu instid0(VALU_DEP_4) | instskip(NEXT) | instid1(VALU_DEP_3)
	v_dual_fmac_f32 v120, 0x3e9e377a, v41 :: v_dual_fmac_f32 v45, 0x3e9e377a, v92
	v_dual_fmac_f32 v86, 0x3e9e377a, v91 :: v_dual_fmac_f32 v9, 0x3e9e377a, v41
	v_fmac_f32_e32 v10, 0x3e9e377a, v122
	v_mul_f32_e32 v41, 0xbf167918, v46
	v_mul_f32_e32 v0, 0x3f4f1bbd, v46
	;; [unrolled: 1-line block ×3, first 2 shown]
	v_dual_fmac_f32 v105, 0xbf737871, v129 :: v_dual_mul_f32 v46, 0xbf737871, v47
	s_delay_alu instid0(VALU_DEP_4) | instskip(NEXT) | instid1(VALU_DEP_4)
	v_fmac_f32_e32 v41, 0x3f4f1bbd, v48
	v_dual_fmac_f32 v107, 0x3f167918, v121 :: v_dual_fmac_f32 v0, 0x3f167918, v48
	v_fmac_f32_e32 v11, 0xbf737871, v111
	v_dual_fmac_f32 v93, 0x3f167918, v103 :: v_dual_fmac_f32 v4, 0x3f167918, v24
	v_mul_f32_e32 v38, 0x3f4f1bbd, v82
	v_fma_f32 v47, 0x3f737871, v86, -v30
	v_add_f32_e32 v30, v42, v0
	v_dual_fmac_f32 v74, 0xbf167918, v115 :: v_dual_fmac_f32 v75, 0xbf167918, v24
	v_dual_add_f32 v24, v50, v3 :: v_dual_fmac_f32 v57, 0x3f167918, v94
	v_fmac_f32_e32 v114, 0x3f167918, v115
	v_fmac_f32_e32 v81, 0x3f737871, v54
	;; [unrolled: 1-line block ×3, first 2 shown]
	v_dual_fmac_f32 v67, 0x3e9e377a, v112 :: v_dual_fmac_f32 v4, 0x3e9e377a, v117
	v_fmac_f32_e32 v57, 0x3e9e377a, v99
	v_fma_f32 v5, 0xbf167918, v5, -v38
	v_sub_f32_e32 v38, v42, v0
	v_dual_sub_f32 v42, v55, v80 :: v_dual_fmac_f32 v11, 0x3f167918, v54
	v_dual_fmamk_f32 v119, v40, 0xbf737871, v125 :: v_dual_mul_f32 v66, 0xbf737871, v67
	v_fmac_f32_e32 v35, 0x3f167918, v124
	v_dual_add_f32 v25, v51, v34 :: v_dual_fmac_f32 v138, 0x3e9e377a, v113
	v_dual_fmac_f32 v93, 0x3e9e377a, v104 :: v_dual_fmac_f32 v98, 0x3e9e377a, v110
	v_dual_fmac_f32 v74, 0x3e9e377a, v116 :: v_dual_fmac_f32 v75, 0x3e9e377a, v117
	v_dual_fmac_f32 v11, 0x3e9e377a, v29 :: v_dual_mul_f32 v34, 0x3e9e377a, v4
	v_fmac_f32_e32 v125, 0x3f737871, v40
	v_dual_fmac_f32 v105, 0xbf167918, v121 :: v_dual_fmac_f32 v100, 0xbf167918, v124
	v_dual_fmac_f32 v8, 0xbf167918, v129 :: v_dual_fmac_f32 v119, 0xbf167918, v126
	v_fmac_f32_e32 v114, 0x3e9e377a, v116
	v_dual_fmac_f32 v107, 0x3e9e377a, v84 :: v_dual_fmac_f32 v118, 0x3e9e377a, v89
	v_add_f32_e32 v29, v53, v31
	v_dual_sub_f32 v3, v53, v31 :: v_dual_mul_f32 v40, 0x3f4f1bbd, v98
	v_fmac_f32_e32 v52, 0x3f167918, v74
	v_mul_f32_e32 v53, 0x3f737871, v75
	v_fmac_f32_e32 v59, 0x3f4f1bbd, v74
	v_fmac_f32_e32 v66, 0x3e9e377a, v75
	v_fma_f32 v74, 0xbf737871, v102, -v34
	v_add_f32_e32 v34, v14, v47
	v_dual_sub_f32 v14, v14, v47 :: v_dual_fmac_f32 v35, 0x3e9e377a, v97
	v_dual_fmac_f32 v105, 0x3e9e377a, v84 :: v_dual_fmac_f32 v8, 0x3e9e377a, v89
	v_fmac_f32_e32 v119, 0x3e9e377a, v127
	v_dual_mul_f32 v33, 0x3e9e377a, v86 :: v_dual_fmac_f32 v46, 0x3e9e377a, v49
	v_fmac_f32_e32 v53, 0x3e9e377a, v67
	v_fma_f32 v67, 0x3f167918, v114, -v40
	v_add_f32_e32 v47, v65, v66
	v_dual_sub_f32 v55, v65, v66 :: v_dual_add_f32 v66, v118, v77
	v_sub_f32_e32 v40, v43, v39
	v_fmac_f32_e32 v37, 0xbf167918, v111
	v_mul_f32_e32 v76, 0x3f4f1bbd, v35
	v_fma_f32 v1, 0xbf737871, v1, -v33
	v_add_f32_e32 v33, v45, v46
	v_fmac_f32_e32 v81, 0x3f167918, v111
	v_fmac_f32_e32 v37, 0x3e9e377a, v123
	;; [unrolled: 1-line block ×3, first 2 shown]
	v_dual_fmac_f32 v100, 0x3e9e377a, v97 :: v_dual_mul_f32 v31, 0x3e9e377a, v102
	v_dual_mul_f32 v50, 0x3f4f1bbd, v114 :: v_dual_sub_f32 v39, v44, v41
	s_delay_alu instid0(VALU_DEP_4) | instskip(NEXT) | instid1(VALU_DEP_4)
	v_fmac_f32_e32 v76, 0x3f167918, v37
	v_fmac_f32_e32 v125, 0x3e9e377a, v127
	s_delay_alu instid0(VALU_DEP_4)
	v_mul_f32_e32 v54, 0x3f4f1bbd, v100
	v_fma_f32 v4, 0x3f737871, v4, -v31
	v_mul_f32_e32 v51, 0x3e9e377a, v10
	v_add_f32_e32 v31, v44, v41
	v_dual_add_f32 v44, v56, v52 :: v_dual_fmac_f32 v81, 0x3e9e377a, v123
	v_mul_f32_e32 v78, 0xbf167918, v35
	v_mul_f32_e32 v35, 0x3e9e377a, v11
	v_dual_sub_f32 v41, v45, v46 :: v_dual_sub_f32 v52, v56, v52
	s_delay_alu instid0(VALU_DEP_4)
	v_dual_mul_f32 v58, 0x3f4f1bbd, v81 :: v_dual_add_f32 v45, v64, v59
	v_fma_f32 v81, 0x3f167918, v81, -v54
	v_sub_f32_e32 v56, v6, v4
	v_fma_f32 v11, 0x3f737871, v11, -v51
	v_fma_f32 v75, 0xbf167918, v98, -v50
	v_dual_fmac_f32 v78, 0x3f4f1bbd, v37 :: v_dual_add_f32 v49, v7, v74
	v_fma_f32 v83, 0xbf167918, v100, -v58
	v_sub_f32_e32 v58, v90, v67
	v_add_f32_e32 v0, v105, v81
	v_add_f32_e32 v46, v57, v53
	v_dual_sub_f32 v54, v57, v53 :: v_dual_sub_f32 v57, v7, v74
	v_dual_add_f32 v74, v8, v11 :: v_dual_fmac_f32 v79, 0x3e9e377a, v128
	v_dual_sub_f32 v53, v64, v59 :: v_dual_add_f32 v64, v107, v76
	v_fma_f32 v82, 0xbf737871, v10, -v35
	v_sub_f32_e32 v10, v105, v81
	v_add_f32_e32 v35, v15, v1
	v_dual_add_f32 v37, v138, v5 :: v_dual_add_nc_u32 v18, 0xa10, v16
	v_dual_sub_f32 v15, v15, v1 :: v_dual_add_nc_u32 v20, 0xa30, v16
	v_dual_sub_f32 v8, v8, v11 :: v_dual_sub_f32 v43, v138, v5
	v_add_f32_e32 v48, v6, v4
	v_sub_f32_e32 v4, v107, v76
	v_add_f32_e32 v50, v90, v67
	v_add_f32_e32 v51, v93, v75
	v_sub_f32_e32 v59, v93, v75
	v_dual_add_f32 v65, v119, v78 :: v_dual_sub_f32 v6, v118, v77
	v_add_f32_e32 v67, v120, v79
	global_wb scope:SCOPE_SE
	s_barrier_signal -1
	s_barrier_wait -1
	global_inv scope:SCOPE_SE
	v_add_f32_e32 v75, v9, v82
	v_add_f32_e32 v1, v125, v83
	v_sub_f32_e32 v5, v119, v78
	v_sub_f32_e32 v7, v120, v79
	;; [unrolled: 1-line block ×4, first 2 shown]
	ds_store_2addr_b64 v16, v[12:13], v[30:31] offset1:1
	ds_store_2addr_b64 v16, v[32:33], v[34:35] offset0:2 offset1:3
	ds_store_2addr_b64 v16, v[36:37], v[22:23] offset0:4 offset1:5
	;; [unrolled: 1-line block ×9, first 2 shown]
	ds_store_2addr_b64 v17, v[28:29], v[64:65] offset1:1
	ds_store_2addr_b64 v18, v[66:67], v[74:75] offset1:1
	;; [unrolled: 1-line block ×5, first 2 shown]
	global_wb scope:SCOPE_SE
	s_wait_dscnt 0x0
	s_barrier_signal -1
	s_barrier_wait -1
	global_inv scope:SCOPE_SE
	ds_load_b64 v[64:65], v70
	ds_load_2addr_b64 v[32:35], v72 offset0:60 offset1:76
	ds_load_2addr_b64 v[20:23], v72 offset0:92 offset1:120
	;; [unrolled: 1-line block ×6, first 2 shown]
	ds_load_b32 v74, v72 offset:3364
	ds_load_b64 v[66:67], v72 offset:3360
	ds_load_2addr_b64 v[16:19], v72 offset0:16 offset1:32
	ds_load_2addr_b64 v[56:59], v72 offset0:136 offset1:152
	ds_load_2addr_b64 v[48:51], v73 offset1:16
	ds_load_2addr_b64 v[44:47], v73 offset0:120 offset1:136
	ds_load_2addr_b64 v[52:55], v73 offset0:180 offset1:196
                                        ; implicit-def: $vgpr13
	s_and_saveexec_b32 s1, s0
	s_cbranch_execz .LBB0_19
; %bb.18:
	ds_load_2addr_b64 v[0:3], v72 offset0:48 offset1:108
	ds_load_2addr_b64 v[4:7], v72 offset0:168 offset1:228
	;; [unrolled: 1-line block ×4, first 2 shown]
.LBB0_19:
	s_wait_alu 0xfffe
	s_or_b32 exec_lo, exec_lo, s1
	s_wait_dscnt 0x5
	v_dual_mov_b32 v76, 0 :: v_dual_add_nc_u32 v67, -10, v60
	v_cmp_gt_u32_e64 s1, 10, v60
	v_or_b32_e32 v73, 16, v60
	v_or_b32_e32 v89, 32, v60
	s_wait_alu 0xf1ff
	s_delay_alu instid0(VALU_DEP_3) | instskip(NEXT) | instid1(VALU_DEP_3)
	v_cndmask_b32_e64 v67, v67, v60, s1
	v_mul_lo_u16 v83, v73, 26
	s_delay_alu instid0(VALU_DEP_2) | instskip(NEXT) | instid1(VALU_DEP_2)
	v_mul_i32_i24_e32 v75, 7, v67
	v_lshrrev_b16 v117, 8, v83
	s_delay_alu instid0(VALU_DEP_2) | instskip(NEXT) | instid1(VALU_DEP_2)
	v_lshlrev_b64_e32 v[75:76], 3, v[75:76]
	v_mul_lo_u16 v90, v117, 10
	v_mul_lo_u16 v117, 0x50, v117
	s_delay_alu instid0(VALU_DEP_2) | instskip(NEXT) | instid1(VALU_DEP_4)
	v_sub_nc_u16 v73, v73, v90
	v_add_co_u32 v87, s1, s4, v75
	s_wait_alu 0xf1ff
	v_add_co_ci_u32_e64 v88, s1, s5, v76, s1
	v_cmp_lt_u32_e64 s1, 9, v60
	s_clause 0x3
	global_load_b128 v[75:78], v[87:88], off
	global_load_b128 v[79:82], v[87:88], off offset:16
	global_load_b128 v[83:86], v[87:88], off offset:32
	global_load_b64 v[111:112], v[87:88], off offset:48
	v_mul_lo_u16 v87, v89, 26
	s_wait_alu 0xf1ff
	v_cndmask_b32_e64 v120, 0, 0x50, s1
	s_delay_alu instid0(VALU_DEP_2) | instskip(SKIP_2) | instid1(VALU_DEP_4)
	v_lshrrev_b16 v118, 8, v87
	v_mul_lo_u16 v87, v73, 7
	v_or_b32_e32 v73, v117, v73
	v_or_b32_e32 v67, v120, v67
	s_delay_alu instid0(VALU_DEP_4) | instskip(NEXT) | instid1(VALU_DEP_4)
	v_mul_lo_u16 v88, v118, 10
	v_and_b32_e32 v87, 0xff, v87
	v_and_b32_e32 v118, 0xffff, v118
	v_and_b32_e32 v73, 0xff, v73
	v_lshlrev_b32_e32 v67, 3, v67
	v_sub_nc_u16 v88, v89, v88
	s_delay_alu instid0(VALU_DEP_4) | instskip(NEXT) | instid1(VALU_DEP_2)
	v_mul_u32_u24_e32 v117, 0x50, v118
	v_and_b32_e32 v119, 0xff, v88
	s_delay_alu instid0(VALU_DEP_1) | instskip(NEXT) | instid1(VALU_DEP_3)
	v_mul_u32_u24_e32 v100, 7, v119
	v_or_b32_e32 v117, v117, v119
	s_delay_alu instid0(VALU_DEP_2) | instskip(NEXT) | instid1(VALU_DEP_2)
	v_lshlrev_b32_e32 v115, 3, v100
	v_lshlrev_b32_e32 v117, 3, v117
	s_wait_loadcnt 0x3
	v_dual_mul_f32 v118, v76, v33 :: v_dual_lshlrev_b32 v99, 3, v87
	v_mul_f32_e32 v76, v76, v32
	s_clause 0x2
	global_load_b128 v[87:90], v99, s[4:5]
	global_load_b128 v[91:94], v99, s[4:5] offset:16
	global_load_b128 v[95:98], v99, s[4:5] offset:32
	s_wait_loadcnt 0x5
	v_mul_f32_e32 v120, v80, v37
	s_clause 0x4
	global_load_b64 v[113:114], v99, s[4:5] offset:48
	global_load_b128 v[99:102], v115, s[4:5]
	global_load_b128 v[103:106], v115, s[4:5] offset:16
	global_load_b128 v[107:110], v115, s[4:5] offset:32
	global_load_b64 v[115:116], v115, s[4:5] offset:48
	s_wait_loadcnt 0x9
	v_dual_mul_f32 v121, v82, v27 :: v_dual_mul_f32 v122, v84, v41
	v_dual_mul_f32 v82, v82, v26 :: v_dual_lshlrev_b32 v73, 3, v73
	v_dual_mul_f32 v84, v84, v40 :: v_dual_mul_f32 v119, v78, v23
	v_mul_f32_e32 v78, v78, v22
	v_mul_f32_e32 v123, v86, v31
	;; [unrolled: 1-line block ×3, first 2 shown]
	v_fma_f32 v32, v75, v32, -v118
	v_fmac_f32_e32 v82, v81, v27
	v_fma_f32 v27, v83, v40, -v122
	v_mul_f32_e32 v80, v80, v36
	v_fmac_f32_e32 v76, v75, v33
	v_fmac_f32_e32 v84, v83, v41
	;; [unrolled: 1-line block ×3, first 2 shown]
	v_sub_f32_e32 v27, v32, v27
	v_fmac_f32_e32 v78, v77, v23
	v_fma_f32 v22, v77, v22, -v119
	v_fma_f32 v23, v79, v36, -v120
	v_fmac_f32_e32 v80, v79, v37
	v_fma_f32 v26, v81, v26, -v121
	v_fma_f32 v32, v32, 2.0, -v27
	v_add3_u32 v67, 0, v67, v71
	global_wb scope:SCOPE_SE
	s_wait_loadcnt_dscnt 0x0
	s_barrier_signal -1
	s_barrier_wait -1
	global_inv scope:SCOPE_SE
	v_add3_u32 v73, 0, v73, v71
	v_add3_u32 v117, 0, v117, v71
	v_mul_f32_e32 v41, v88, v35
	v_dual_mul_f32 v75, v56, v90 :: v_dual_mul_f32 v124, v74, v112
	v_sub_f32_e32 v33, v65, v82
	v_dual_mul_f32 v112, v112, v66 :: v_dual_mul_f32 v77, v39, v92
	v_mul_f32_e32 v79, v38, v92
	v_dual_sub_f32 v37, v76, v84 :: v_dual_sub_f32 v36, v78, v86
	s_delay_alu instid0(VALU_DEP_3) | instskip(SKIP_3) | instid1(VALU_DEP_4)
	v_dual_fmac_f32 v112, v74, v111 :: v_dual_mul_f32 v81, v49, v94
	v_fma_f32 v30, v85, v30, -v123
	v_fma_f32 v31, v111, v66, -v124
	v_mul_f32_e32 v111, v29, v108
	v_dual_sub_f32 v40, v80, v112 :: v_dual_mul_f32 v85, v45, v98
	v_mul_f32_e32 v112, v47, v110
	v_mul_f32_e32 v110, v46, v110
	v_fma_f32 v65, v65, 2.0, -v33
	v_fma_f32 v78, v78, 2.0, -v36
	v_dual_sub_f32 v26, v64, v26 :: v_dual_sub_f32 v31, v23, v31
	v_dual_sub_f32 v30, v22, v30 :: v_dual_mul_f32 v83, v43, v96
	v_mul_f32_e32 v66, v88, v34
	v_mul_f32_e32 v84, v42, v96
	v_dual_fmac_f32 v110, v47, v109 :: v_dual_sub_f32 v47, v65, v78
	v_dual_mul_f32 v74, v57, v90 :: v_dual_fmac_f32 v79, v39, v91
	v_fma_f32 v23, v23, 2.0, -v31
	v_add_f32_e32 v31, v37, v31
	v_fma_f32 v34, v87, v34, -v41
	v_fma_f32 v41, v42, v95, -v83
	v_mul_f32_e32 v90, v52, v114
	v_fmac_f32_e32 v84, v43, v95
	v_fma_f32 v65, v65, 2.0, -v47
	v_fmac_f32_e32 v66, v87, v35
	v_mul_f32_e32 v96, v59, v102
	v_fma_f32 v39, v48, v93, -v81
	v_dual_mul_f32 v88, v53, v114 :: v_dual_sub_f32 v41, v34, v41
	s_delay_alu instid0(VALU_DEP_4) | instskip(SKIP_3) | instid1(VALU_DEP_4)
	v_dual_fmac_f32 v90, v53, v113 :: v_dual_sub_f32 v53, v66, v84
	v_dual_mul_f32 v82, v48, v94 :: v_dual_fmac_f32 v75, v57, v89
	v_fma_f32 v80, v80, 2.0, -v40
	v_sub_f32_e32 v36, v26, v36
	v_fma_f32 v66, v66, 2.0, -v53
	v_sub_f32_e32 v40, v27, v40
	v_fma_f32 v64, v64, 2.0, -v26
	v_fma_f32 v38, v38, v91, -v77
	v_fmac_f32_e32 v82, v49, v93
	v_mul_f32_e32 v94, v20, v100
	v_fma_f32 v49, v26, 2.0, -v36
	v_sub_f32_e32 v26, v32, v23
	v_mul_f32_e32 v108, v28, v108
	v_fma_f32 v27, v27, 2.0, -v40
	v_dual_mul_f32 v114, v55, v116 :: v_dual_sub_f32 v39, v16, v39
	v_fma_f32 v43, v52, v113, -v88
	v_mul_f32_e32 v92, v21, v100
	v_mul_f32_e32 v100, v25, v104
	v_fma_f32 v22, v22, 2.0, -v30
	v_add_f32_e32 v30, v33, v30
	v_mul_f32_e32 v86, v44, v98
	v_fmac_f32_e32 v108, v29, v107
	v_fma_f32 v48, v24, v103, -v100
	v_fma_f32 v29, v54, v115, -v114
	v_mul_f32_e32 v98, v58, v102
	v_fma_f32 v76, v76, 2.0, -v37
	v_fma_f32 v33, v33, 2.0, -v30
	;; [unrolled: 1-line block ×3, first 2 shown]
	v_sub_f32_e32 v29, v48, v29
	v_fmac_f32_e32 v98, v59, v101
	v_mul_f32_e32 v102, v24, v104
	s_delay_alu instid0(VALU_DEP_4) | instskip(SKIP_1) | instid1(VALU_DEP_4)
	v_dual_mul_f32 v104, v51, v106 :: v_dual_fmamk_f32 v23, v37, 0xbf3504f3, v33
	v_mul_f32_e32 v106, v50, v106
	v_sub_f32_e32 v57, v98, v110
	v_mul_f32_e32 v116, v54, v116
	v_fmac_f32_e32 v102, v25, v103
	v_fma_f32 v35, v56, v89, -v74
	v_dual_fmac_f32 v106, v51, v105 :: v_dual_sub_f32 v51, v17, v82
	s_delay_alu instid0(VALU_DEP_4)
	v_fmac_f32_e32 v116, v55, v115
	v_fma_f32 v42, v44, v97, -v85
	v_sub_f32_e32 v43, v38, v43
	v_fma_f32 v44, v20, v99, -v92
	v_sub_f32_e32 v54, v79, v90
	v_sub_f32_e32 v74, v102, v116
	;; [unrolled: 1-line block ×3, first 2 shown]
	v_fma_f32 v25, v28, v107, -v111
	v_fma_f32 v24, v50, v105, -v104
	v_sub_f32_e32 v50, v76, v80
	v_fma_f32 v81, v102, 2.0, -v74
	v_fmac_f32_e32 v94, v21, v99
	v_fmamk_f32 v21, v31, 0x3f3504f3, v30
	v_fmac_f32_e32 v86, v45, v97
	v_fma_f32 v45, v58, v101, -v96
	v_fma_f32 v38, v38, 2.0, -v43
	v_sub_f32_e32 v59, v94, v108
	v_fma_f32 v28, v46, v109, -v112
	v_dual_sub_f32 v52, v75, v86 :: v_dual_add_f32 v43, v53, v43
	v_sub_f32_e32 v56, v19, v106
	s_delay_alu instid0(VALU_DEP_4) | instskip(NEXT) | instid1(VALU_DEP_4)
	v_dual_add_f32 v83, v59, v29 :: v_dual_fmamk_f32 v20, v40, 0x3f3504f3, v36
	v_sub_f32_e32 v28, v45, v28
	v_dual_sub_f32 v55, v18, v24 :: v_dual_sub_f32 v58, v44, v25
	v_fma_f32 v76, v76, 2.0, -v50
	s_delay_alu instid0(VALU_DEP_4)
	v_fmac_f32_e32 v20, 0xbf3504f3, v31
	v_fma_f32 v31, v35, 2.0, -v42
	v_fma_f32 v35, v75, 2.0, -v52
	;; [unrolled: 1-line block ×3, first 2 shown]
	v_add_f32_e32 v42, v51, v42
	v_sub_f32_e32 v46, v64, v22
	v_fmamk_f32 v22, v27, 0xbf3504f3, v49
	v_dual_add_f32 v25, v47, v26 :: v_dual_add_f32 v82, v56, v28
	v_sub_f32_e32 v54, v41, v54
	s_delay_alu instid0(VALU_DEP_4) | instskip(SKIP_4) | instid1(VALU_DEP_4)
	v_sub_f32_e32 v24, v46, v50
	v_fma_f32 v50, v17, 2.0, -v51
	v_dual_fmac_f32 v22, 0xbf3504f3, v37 :: v_dual_sub_f32 v37, v66, v75
	v_fmac_f32_e32 v21, 0x3f3504f3, v40
	v_fmac_f32_e32 v23, 0x3f3504f3, v27
	v_sub_f32_e32 v35, v50, v35
	v_fma_f32 v40, v16, 2.0, -v39
	v_fma_f32 v34, v34, 2.0, -v41
	;; [unrolled: 1-line block ×3, first 2 shown]
	ds_store_2addr_b64 v67, v[24:25], v[20:21] offset0:60 offset1:70
	v_fmamk_f32 v21, v43, 0x3f3504f3, v42
	v_fma_f32 v64, v64, 2.0, -v46
	v_sub_f32_e32 v52, v39, v52
	v_fma_f32 v78, v19, 2.0, -v56
	v_fma_f32 v19, v47, 2.0, -v25
	v_fmamk_f32 v25, v83, 0x3f3504f3, v82
	v_fma_f32 v32, v32, 2.0, -v26
	v_fma_f32 v77, v18, 2.0, -v55
	;; [unrolled: 1-line block ×6, first 2 shown]
	v_sub_f32_e32 v74, v58, v74
	v_fmac_f32_e32 v21, 0x3f3504f3, v54
	v_fma_f32 v79, v98, 2.0, -v57
	v_dual_sub_f32 v57, v55, v57 :: v_dual_sub_f32 v16, v64, v32
	v_sub_f32_e32 v17, v65, v76
	v_fma_f32 v18, v46, 2.0, -v24
	v_fma_f32 v26, v36, 2.0, -v20
	v_sub_f32_e32 v32, v40, v31
	v_fma_f32 v46, v39, 2.0, -v52
	v_fma_f32 v47, v51, 2.0, -v42
	;; [unrolled: 3-line block ×3, first 2 shown]
	v_sub_f32_e32 v41, v77, v45
	v_sub_f32_e32 v45, v78, v79
	v_fma_f32 v51, v55, 2.0, -v57
	v_fma_f32 v53, v56, 2.0, -v82
	v_sub_f32_e32 v48, v44, v48
	v_sub_f32_e32 v55, v80, v81
	v_fma_f32 v56, v58, 2.0, -v74
	v_fma_f32 v58, v59, 2.0, -v83
	v_fmamk_f32 v20, v54, 0x3f3504f3, v52
	v_fma_f32 v28, v64, 2.0, -v16
	v_fma_f32 v29, v65, 2.0, -v17
	;; [unrolled: 1-line block ×4, first 2 shown]
	ds_store_2addr_b64 v67, v[18:19], v[26:27] offset0:20 offset1:30
	ds_store_2addr_b64 v67, v[16:17], v[22:23] offset0:40 offset1:50
	v_fma_f32 v40, v40, 2.0, -v32
	v_fma_f32 v49, v50, 2.0, -v35
	v_fma_f32 v33, v34, 2.0, -v36
	v_fma_f32 v34, v66, 2.0, -v37
	v_dual_fmamk_f32 v16, v38, 0xbf3504f3, v46 :: v_dual_fmamk_f32 v17, v39, 0xbf3504f3, v47
	v_dual_sub_f32 v18, v32, v37 :: v_dual_add_f32 v19, v35, v36
	v_fma_f32 v50, v77, 2.0, -v41
	v_fma_f32 v54, v78, 2.0, -v45
	;; [unrolled: 1-line block ×4, first 2 shown]
	v_fmamk_f32 v22, v56, 0xbf3504f3, v51
	v_fmamk_f32 v23, v58, 0xbf3504f3, v53
	;; [unrolled: 1-line block ×3, first 2 shown]
	v_fmac_f32_e32 v20, 0xbf3504f3, v43
	v_sub_f32_e32 v26, v41, v55
	ds_store_2addr_b64 v67, v[28:29], v[30:31] offset1:10
	v_dual_sub_f32 v28, v40, v33 :: v_dual_sub_f32 v29, v49, v34
	v_fmac_f32_e32 v16, 0xbf3504f3, v39
	v_fmac_f32_e32 v17, 0x3f3504f3, v38
	v_add_f32_e32 v27, v45, v48
	v_fma_f32 v31, v35, 2.0, -v19
	v_sub_f32_e32 v34, v50, v36
	v_dual_sub_f32 v35, v54, v37 :: v_dual_fmac_f32 v22, 0xbf3504f3, v58
	v_fmac_f32_e32 v23, 0x3f3504f3, v56
	v_fmac_f32_e32 v24, 0xbf3504f3, v83
	;; [unrolled: 1-line block ×3, first 2 shown]
	v_fma_f32 v30, v32, 2.0, -v18
	v_fma_f32 v32, v52, 2.0, -v20
	;; [unrolled: 1-line block ×15, first 2 shown]
	ds_store_2addr_b64 v73, v[18:19], v[20:21] offset0:60 offset1:70
	ds_store_2addr_b64 v73, v[30:31], v[32:33] offset0:20 offset1:30
	;; [unrolled: 1-line block ×3, first 2 shown]
	ds_store_2addr_b64 v73, v[40:41], v[42:43] offset1:10
	ds_store_2addr_b64 v117, v[44:45], v[46:47] offset1:10
	ds_store_2addr_b64 v117, v[36:37], v[38:39] offset0:20 offset1:30
	ds_store_2addr_b64 v117, v[34:35], v[22:23] offset0:40 offset1:50
	;; [unrolled: 1-line block ×3, first 2 shown]
	s_and_saveexec_b32 s1, s0
	s_cbranch_execz .LBB0_21
; %bb.20:
	v_or_b32_e32 v16, 48, v60
	s_delay_alu instid0(VALU_DEP_1) | instskip(NEXT) | instid1(VALU_DEP_1)
	v_mul_lo_u16 v17, v16, 26
	v_lshrrev_b16 v30, 8, v17
	s_delay_alu instid0(VALU_DEP_1) | instskip(NEXT) | instid1(VALU_DEP_1)
	v_mul_lo_u16 v17, v30, 10
	v_sub_nc_u16 v16, v16, v17
	s_delay_alu instid0(VALU_DEP_1) | instskip(NEXT) | instid1(VALU_DEP_1)
	v_and_b32_e32 v31, 0xff, v16
	v_mul_u32_u24_e32 v16, 7, v31
	s_delay_alu instid0(VALU_DEP_1)
	v_lshlrev_b32_e32 v28, 3, v16
	s_clause 0x3
	global_load_b128 v[16:19], v28, s[4:5]
	global_load_b128 v[20:23], v28, s[4:5] offset:32
	global_load_b128 v[24:27], v28, s[4:5] offset:16
	global_load_b64 v[28:29], v28, s[4:5] offset:48
	v_and_b32_e32 v30, 0xffff, v30
	s_wait_loadcnt 0x3
	v_mul_f32_e32 v34, v3, v17
	s_wait_loadcnt 0x2
	v_mul_f32_e32 v32, v13, v23
	s_wait_loadcnt 0x1
	v_mul_f32_e32 v33, v8, v27
	v_mul_f32_e32 v27, v9, v27
	v_mul_u32_u24_e32 v30, 0x50, v30
	v_mul_f32_e32 v36, v6, v25
	v_mul_f32_e32 v35, v11, v21
	s_delay_alu instid0(VALU_DEP_3)
	v_or_b32_e32 v30, v30, v31
	v_mul_f32_e32 v31, v5, v19
	v_mul_f32_e32 v19, v4, v19
	s_wait_loadcnt 0x0
	v_dual_mul_f32 v37, v14, v29 :: v_dual_fmac_f32 v36, v7, v24
	v_lshlrev_b32_e32 v30, 3, v30
	v_fma_f32 v4, v4, v18, -v31
	v_fmac_f32_e32 v19, v5, v18
	s_delay_alu instid0(VALU_DEP_4) | instskip(SKIP_4) | instid1(VALU_DEP_3)
	v_fmac_f32_e32 v37, v15, v28
	v_fmac_f32_e32 v33, v9, v26
	v_mul_f32_e32 v23, v12, v23
	v_fma_f32 v12, v12, v22, -v32
	v_fma_f32 v9, v10, v20, -v35
	v_fmac_f32_e32 v23, v13, v22
	v_mul_f32_e32 v17, v2, v17
	s_delay_alu instid0(VALU_DEP_4) | instskip(SKIP_1) | instid1(VALU_DEP_4)
	v_sub_f32_e32 v5, v4, v12
	v_fma_f32 v2, v2, v16, -v34
	v_sub_f32_e32 v12, v19, v23
	s_delay_alu instid0(VALU_DEP_4) | instskip(SKIP_3) | instid1(VALU_DEP_3)
	v_fmac_f32_e32 v17, v3, v16
	v_fma_f32 v3, v8, v26, -v27
	v_fma_f32 v4, v4, 2.0, -v5
	v_add3_u32 v16, 0, v30, v71
	v_sub_f32_e32 v3, v0, v3
	v_mul_f32_e32 v21, v10, v21
	v_sub_f32_e32 v10, v36, v37
	v_sub_f32_e32 v8, v1, v33
	s_delay_alu instid0(VALU_DEP_4) | instskip(SKIP_2) | instid1(VALU_DEP_4)
	v_sub_f32_e32 v18, v3, v12
	v_mul_f32_e32 v29, v15, v29
	v_fmac_f32_e32 v21, v11, v20
	v_add_f32_e32 v13, v8, v5
	v_fma_f32 v20, v1, 2.0, -v8
	v_fma_f32 v23, v3, 2.0, -v18
	v_sub_f32_e32 v9, v2, v9
	v_mul_f32_e32 v25, v7, v25
	v_fma_f32 v7, v14, v28, -v29
	v_sub_f32_e32 v11, v17, v21
	v_fma_f32 v12, v19, 2.0, -v12
	v_sub_f32_e32 v14, v9, v10
	v_fma_f32 v6, v6, v24, -v25
	v_fma_f32 v19, v2, 2.0, -v9
	v_fma_f32 v5, v36, 2.0, -v10
	v_sub_f32_e32 v10, v20, v12
	v_fma_f32 v22, v8, 2.0, -v13
	v_sub_f32_e32 v7, v6, v7
	v_fma_f32 v8, v9, 2.0, -v14
	s_delay_alu instid0(VALU_DEP_2) | instskip(SKIP_3) | instid1(VALU_DEP_4)
	v_add_f32_e32 v15, v11, v7
	v_fma_f32 v2, v6, 2.0, -v7
	v_fma_f32 v6, v0, 2.0, -v3
	;; [unrolled: 1-line block ×3, first 2 shown]
	v_dual_fmamk_f32 v0, v14, 0x3f3504f3, v18 :: v_dual_fmamk_f32 v1, v15, 0x3f3504f3, v13
	s_delay_alu instid0(VALU_DEP_3) | instskip(NEXT) | instid1(VALU_DEP_3)
	v_dual_sub_f32 v12, v19, v2 :: v_dual_sub_f32 v17, v6, v4
	v_sub_f32_e32 v21, v7, v5
	v_fma_f32 v11, v11, 2.0, -v15
	s_delay_alu instid0(VALU_DEP_4) | instskip(NEXT) | instid1(VALU_DEP_4)
	v_fmac_f32_e32 v1, 0x3f3504f3, v14
	v_dual_fmac_f32 v0, 0xbf3504f3, v15 :: v_dual_add_f32 v3, v10, v12
	s_delay_alu instid0(VALU_DEP_3)
	v_dual_sub_f32 v2, v17, v21 :: v_dual_fmamk_f32 v5, v11, 0xbf3504f3, v22
	v_fmamk_f32 v4, v8, 0xbf3504f3, v23
	v_fma_f32 v14, v20, 2.0, -v10
	v_fma_f32 v15, v7, 2.0, -v21
	;; [unrolled: 1-line block ×5, first 2 shown]
	v_fmac_f32_e32 v5, 0x3f3504f3, v8
	v_fmac_f32_e32 v4, 0xbf3504f3, v11
	s_delay_alu instid0(VALU_DEP_4)
	v_dual_sub_f32 v11, v14, v15 :: v_dual_sub_f32 v10, v20, v12
	v_fma_f32 v7, v13, 2.0, -v1
	v_fma_f32 v6, v18, 2.0, -v0
	;; [unrolled: 1-line block ×7, first 2 shown]
	ds_store_2addr_b64 v16, v[8:9], v[6:7] offset0:20 offset1:30
	ds_store_2addr_b64 v16, v[10:11], v[4:5] offset0:40 offset1:50
	ds_store_2addr_b64 v16, v[14:15], v[12:13] offset1:10
	ds_store_2addr_b64 v16, v[2:3], v[0:1] offset0:60 offset1:70
.LBB0_21:
	s_wait_alu 0xfffe
	s_or_b32 exec_lo, exec_lo, s1
	v_mul_u32_u24_e32 v0, 5, v60
	global_wb scope:SCOPE_SE
	s_wait_dscnt 0x0
	s_barrier_signal -1
	s_barrier_wait -1
	global_inv scope:SCOPE_SE
	v_lshlrev_b32_e32 v0, 3, v0
	v_lshl_add_u32 v10, v69, 3, v61
	s_clause 0xb
	global_load_b128 v[12:15], v0, s[4:5] offset:560
	global_load_b128 v[16:19], v0, s[4:5] offset:576
	global_load_b64 v[109:110], v0, s[4:5] offset:592
	global_load_b128 v[20:23], v0, s[4:5] offset:1200
	global_load_b128 v[24:27], v0, s[4:5] offset:1216
	global_load_b64 v[111:112], v0, s[4:5] offset:1232
	;; [unrolled: 3-line block ×4, first 2 shown]
	v_add_nc_u32_e32 v0, 0xa00, v0
	v_add_nc_u32_e32 v11, 0x800, v72
	s_clause 0x2
	global_load_b128 v[44:47], v0, s[4:5] offset:560
	global_load_b128 v[48:51], v0, s[4:5] offset:576
	global_load_b64 v[117:118], v0, s[4:5] offset:592
	v_add_nc_u32_e32 v0, 0x400, v72
	ds_load_2addr_b64 v[52:55], v72 offset0:80 offset1:96
	ds_load_2addr_b64 v[56:59], v72 offset0:144 offset1:160
	;; [unrolled: 1-line block ×10, first 2 shown]
	s_wait_loadcnt_dscnt 0xd06
	v_dual_mul_f32 v61, v53, v13 :: v_dual_mul_f32 v120, v76, v19
	ds_load_b64 v[8:9], v70
	ds_load_b64 v[69:70], v72 offset:3712
	ds_load_2addr_b64 v[93:96], v11 offset0:80 offset1:96
	ds_load_2addr_b64 v[97:100], v11 offset0:16 offset1:32
	;; [unrolled: 1-line block ×4, first 2 shown]
	v_mul_f32_e32 v71, v52, v13
	v_mul_f32_e32 v13, v59, v15
	s_wait_loadcnt_dscnt 0x90a
	v_dual_mul_f32 v119, v65, v17 :: v_dual_mul_f32 v126, v80, v112
	v_dual_mul_f32 v17, v64, v17 :: v_dual_mul_f32 v112, v79, v112
	;; [unrolled: 1-line block ×3, first 2 shown]
	s_wait_loadcnt_dscnt 0x809
	v_dual_mul_f32 v123, v54, v21 :: v_dual_mul_f32 v128, v84, v31
	v_dual_mul_f32 v21, v82, v23 :: v_dual_mul_f32 v124, v67, v25
	v_mul_f32_e32 v23, v81, v23
	v_dual_mul_f32 v15, v58, v15 :: v_dual_mul_f32 v110, v77, v110
	v_mul_f32_e32 v19, v75, v19
	s_wait_dscnt 0x8
	v_mul_f32_e32 v127, v86, v29
	s_wait_loadcnt_dscnt 0x702
	v_mul_f32_e32 v129, v98, v33
	v_fma_f32 v52, v52, v12, -v61
	v_fma_f32 v54, v54, v20, -v122
	;; [unrolled: 1-line block ×3, first 2 shown]
	v_fmac_f32_e32 v17, v65, v16
	v_fma_f32 v65, v66, v24, -v124
	s_wait_loadcnt 0x5
	v_dual_fmac_f32 v123, v55, v20 :: v_dual_mul_f32 v20, v89, v39
	v_fmac_f32_e32 v71, v53, v12
	v_fma_f32 v12, v58, v14, -v13
	v_dual_mul_f32 v58, v88, v37 :: v_dual_fmac_f32 v23, v82, v22
	s_wait_loadcnt_dscnt 0x400
	v_mul_f32_e32 v22, v105, v43
	v_dual_mul_f32 v29, v85, v29 :: v_dual_fmac_f32 v112, v80, v111
	v_fmac_f32_e32 v15, v59, v14
	s_delay_alu instid0(VALU_DEP_3)
	v_dual_mul_f32 v13, v97, v33 :: v_dual_fmac_f32 v22, v106, v42
	v_fma_f32 v53, v64, v16, -v119
	v_fma_f32 v16, v75, v18, -v120
	v_fmac_f32_e32 v19, v76, v18
	v_dual_mul_f32 v18, v101, v114 :: v_dual_mul_f32 v31, v83, v31
	v_fmac_f32_e32 v20, v90, v38
	v_dual_mul_f32 v25, v66, v25 :: v_dual_mul_f32 v14, v96, v35
	v_mul_f32_e32 v59, v90, v39
	v_fma_f32 v66, v85, v28, -v127
	s_delay_alu instid0(VALU_DEP_4)
	v_dual_fmac_f32 v13, v98, v32 :: v_dual_sub_f32 v90, v20, v22
	v_fmac_f32_e32 v18, v102, v113
	v_fmac_f32_e32 v29, v86, v28
	v_fma_f32 v28, v83, v30, -v128
	v_fmac_f32_e32 v31, v84, v30
	v_fma_f32 v30, v97, v32, -v129
	v_mul_f32_e32 v125, v94, v27
	v_dual_mul_f32 v27, v93, v27 :: v_dual_fmac_f32 v110, v78, v109
	v_mul_f32_e32 v33, v95, v35
	v_mul_f32_e32 v35, v102, v114
	;; [unrolled: 1-line block ×3, first 2 shown]
	v_fma_f32 v64, v77, v109, -v121
	v_mul_f32_e32 v39, v100, v41
	v_dual_fmac_f32 v25, v67, v24 :: v_dual_add_f32 v84, v66, v30
	v_mul_f32_e32 v41, v99, v41
	v_fma_f32 v14, v95, v34, -v14
	s_wait_loadcnt 0x3
	v_mul_f32_e32 v61, v103, v116
	v_fma_f32 v32, v101, v113, -v35
	v_fmac_f32_e32 v33, v96, v34
	v_fma_f32 v34, v87, v36, -v58
	v_fmac_f32_e32 v37, v88, v36
	v_fma_f32 v35, v89, v38, -v59
	v_fma_f32 v36, v99, v40, -v39
	v_sub_f32_e32 v78, v25, v112
	s_wait_loadcnt 0x2
	v_dual_fmac_f32 v41, v100, v40 :: v_dual_mul_f32 v40, v57, v45
	v_fma_f32 v24, v93, v26, -v125
	v_dual_add_f32 v80, v6, v28 :: v_dual_add_f32 v81, v28, v14
	v_sub_f32_e32 v28, v28, v14
	v_fmac_f32_e32 v61, v104, v115
	v_fmac_f32_e32 v27, v94, v26
	v_fma_f32 v26, v79, v111, -v126
	v_add_f32_e32 v85, v30, v32
	v_sub_f32_e32 v30, v30, v32
	v_dual_mul_f32 v55, v106, v43 :: v_dual_sub_f32 v82, v31, v33
	s_delay_alu instid0(VALU_DEP_4) | instskip(SKIP_1) | instid1(VALU_DEP_3)
	v_dual_add_f32 v77, v65, v26 :: v_dual_add_f32 v88, v0, v35
	v_dual_sub_f32 v94, v41, v61 :: v_dual_mul_f32 v43, v104, v116
	v_fma_f32 v38, v105, v42, -v55
	v_mul_f32_e32 v55, v56, v45
	v_mul_f32_e32 v42, v92, v47
	s_wait_loadcnt 0x0
	v_mul_f32_e32 v58, v70, v118
	v_fma_f32 v39, v103, v115, -v43
	v_mul_f32_e32 v43, v91, v47
	v_mul_f32_e32 v45, v74, v49
	v_add_f32_e32 v75, v5, v23
	v_mul_f32_e32 v47, v73, v49
	v_dual_mul_f32 v49, v108, v51 :: v_dual_add_f32 v76, v54, v65
	v_fmac_f32_e32 v54, -0.5, v77
	v_add_f32_e32 v79, v123, v25
	v_mul_f32_e32 v59, v69, v118
	v_fma_f32 v56, v56, v44, -v40
	v_fma_f32 v40, v91, v46, -v42
	v_dual_add_f32 v91, v1, v20 :: v_dual_add_f32 v20, v20, v22
	v_add_f32_e32 v93, v36, v39
	v_dual_fmac_f32 v43, v92, v46 :: v_dual_add_f32 v92, v34, v36
	v_fmac_f32_e32 v59, v70, v117
	v_add_f32_e32 v70, v4, v21
	v_sub_f32_e32 v36, v36, v39
	v_fma_f32 v42, v73, v48, -v45
	v_fma_f32 v45, v69, v117, -v58
	v_sub_f32_e32 v67, v17, v110
	v_add_f32_e32 v69, v71, v17
	v_add_f32_e32 v17, v17, v110
	v_dual_mul_f32 v51, v107, v51 :: v_dual_fmac_f32 v66, -0.5, v85
	v_add_f32_e32 v46, v8, v12
	v_add_f32_e32 v58, v53, v64
	;; [unrolled: 1-line block ×3, first 2 shown]
	v_sub_f32_e32 v21, v21, v24
	v_fmac_f32_e32 v71, -0.5, v17
	v_dual_add_f32 v17, v70, v24 :: v_dual_add_f32 v24, v75, v27
	v_fmac_f32_e32 v47, v74, v48
	v_add_f32_e32 v48, v12, v16
	v_sub_f32_e32 v12, v12, v16
	v_sub_f32_e32 v74, v23, v27
	v_dual_sub_f32 v86, v13, v18 :: v_dual_add_f32 v83, v7, v31
	v_add_f32_e32 v16, v46, v16
	v_fmac_f32_e32 v55, v57, v44
	v_fma_f32 v44, v107, v50, -v49
	v_fma_f32 v8, -0.5, v48, v8
	v_add_f32_e32 v46, v69, v110
	v_fma_f32 v48, -0.5, v73, v4
	v_add_f32_e32 v23, v23, v27
	v_add_f32_e32 v27, v84, v32
	;; [unrolled: 1-line block ×3, first 2 shown]
	v_dual_add_f32 v57, v52, v53 :: v_dual_fmac_f32 v52, -0.5, v58
	v_add_f32_e32 v95, v37, v41
	v_dual_fmac_f32 v51, v108, v50 :: v_dual_add_f32 v50, v9, v15
	v_sub_f32_e32 v49, v15, v19
	v_dual_add_f32 v15, v15, v19 :: v_dual_add_f32 v70, v56, v42
	v_add_f32_e32 v73, v42, v45
	s_delay_alu instid0(VALU_DEP_4)
	v_add_f32_e32 v19, v50, v19
	v_fma_f32 v50, -0.5, v23, v5
	v_add_f32_e32 v23, v76, v26
	v_add_f32_e32 v31, v31, v33
	v_dual_fmac_f32 v9, -0.5, v15 :: v_dual_add_f32 v70, v70, v45
	v_dual_add_f32 v15, v57, v64 :: v_dual_fmac_f32 v56, -0.5, v73
	v_sub_f32_e32 v53, v53, v64
	v_fma_f32 v64, -0.5, v20, v1
	v_add_f32_e32 v1, v19, v46
	v_dual_sub_f32 v5, v19, v46 :: v_dual_fmamk_f32 v46, v74, 0x3f5db3d7, v48
	v_fmac_f32_e32 v48, 0xbf5db3d7, v74
	v_dual_fmamk_f32 v74, v78, 0x3f5db3d7, v54 :: v_dual_fmac_f32 v7, -0.5, v31
	v_dual_add_f32 v25, v25, v112 :: v_dual_fmac_f32 v54, 0xbf5db3d7, v78
	v_sub_f32_e32 v65, v65, v26
	v_dual_add_f32 v87, v29, v13 :: v_dual_add_f32 v26, v79, v112
	s_delay_alu instid0(VALU_DEP_3)
	v_fmac_f32_e32 v123, -0.5, v25
	v_add_f32_e32 v25, v80, v14
	v_add_f32_e32 v89, v35, v38
	v_sub_f32_e32 v35, v35, v38
	v_dual_add_f32 v13, v13, v18 :: v_dual_fmac_f32 v34, -0.5, v93
	v_sub_f32_e32 v42, v42, v45
	s_delay_alu instid0(VALU_DEP_4) | instskip(SKIP_1) | instid1(VALU_DEP_4)
	v_fma_f32 v58, -0.5, v89, v0
	v_fmamk_f32 v79, v67, 0x3f5db3d7, v52
	v_dual_fmac_f32 v29, -0.5, v13 :: v_dual_fmac_f32 v52, 0xbf5db3d7, v67
	v_dual_add_f32 v0, v16, v15 :: v_dual_fmamk_f32 v67, v53, 0xbf5db3d7, v71
	v_sub_f32_e32 v4, v16, v15
	v_add_f32_e32 v13, v24, v26
	v_dual_sub_f32 v15, v24, v26 :: v_dual_fmamk_f32 v24, v86, 0x3f5db3d7, v66
	v_fmamk_f32 v78, v65, 0xbf5db3d7, v123
	v_fma_f32 v57, -0.5, v81, v6
	v_fmac_f32_e32 v66, 0xbf5db3d7, v86
	v_dual_add_f32 v6, v83, v33 :: v_dual_fmamk_f32 v81, v90, 0x3f5db3d7, v58
	v_fmac_f32_e32 v58, 0xbf5db3d7, v90
	v_dual_add_f32 v33, v91, v22 :: v_dual_add_f32 v22, v92, v39
	v_add_f32_e32 v41, v41, v61
	v_add_f32_e32 v39, v2, v40
	v_dual_sub_f32 v75, v47, v59 :: v_dual_fmamk_f32 v80, v28, 0xbf5db3d7, v7
	s_delay_alu instid0(VALU_DEP_4) | instskip(NEXT) | instid1(VALU_DEP_4)
	v_dual_fmac_f32 v7, 0x3f5db3d7, v28 :: v_dual_add_f32 v20, v32, v22
	v_fmac_f32_e32 v37, -0.5, v41
	s_delay_alu instid0(VALU_DEP_4)
	v_dual_add_f32 v83, v39, v44 :: v_dual_mul_f32 v28, 0x3f5db3d7, v67
	v_add_f32_e32 v41, v40, v44
	v_sub_f32_e32 v40, v40, v44
	v_mul_f32_e32 v44, -0.5, v66
	v_add_f32_e32 v16, v25, v27
	v_fmac_f32_e32 v28, 0.5, v79
	v_fmamk_f32 v86, v75, 0x3f5db3d7, v56
	v_dual_fmamk_f32 v26, v30, 0xbf5db3d7, v29 :: v_dual_add_f32 v31, v87, v18
	v_dual_sub_f32 v18, v25, v27 :: v_dual_fmamk_f32 v25, v94, 0x3f5db3d7, v34
	v_fmac_f32_e32 v34, 0xbf5db3d7, v94
	v_fmamk_f32 v77, v49, 0x3f5db3d7, v8
	v_fmac_f32_e32 v71, 0x3f5db3d7, v53
	v_dual_fmac_f32 v56, 0xbf5db3d7, v75 :: v_dual_fmamk_f32 v27, v36, 0xbf5db3d7, v37
	v_fmac_f32_e32 v37, 0x3f5db3d7, v36
	v_mul_f32_e32 v73, -0.5, v34
	v_sub_f32_e32 v22, v32, v22
	v_mul_f32_e32 v32, -0.5, v71
	v_dual_mul_f32 v36, -0.5, v54 :: v_dual_fmac_f32 v123, 0x3f5db3d7, v65
	v_fmamk_f32 v65, v82, 0x3f5db3d7, v57
	v_dual_fmac_f32 v57, 0xbf5db3d7, v82 :: v_dual_fmamk_f32 v82, v35, 0xbf5db3d7, v64
	v_dual_fmac_f32 v64, 0x3f5db3d7, v35 :: v_dual_mul_f32 v35, 0x3f5db3d7, v78
	v_fmac_f32_e32 v73, 0x3f5db3d7, v37
	v_add_f32_e32 v38, v95, v61
	v_dual_sub_f32 v61, v43, v51 :: v_dual_fmac_f32 v32, 0xbf5db3d7, v52
	v_dual_add_f32 v76, v55, v47 :: v_dual_fmac_f32 v29, 0x3f5db3d7, v30
	v_fma_f32 v2, -0.5, v41, v2
	v_dual_mul_f32 v30, -0.5, v52 :: v_dual_fmac_f32 v35, 0.5, v74
	v_sub_f32_e32 v52, v58, v73
	v_dual_mul_f32 v84, -0.5, v37 :: v_dual_add_f32 v47, v47, v59
	v_fmac_f32_e32 v8, 0xbf5db3d7, v49
	v_fmamk_f32 v53, v21, 0xbf5db3d7, v50
	v_fmac_f32_e32 v50, 0x3f5db3d7, v21
	v_sub_f32_e32 v14, v17, v23
	v_dual_add_f32 v59, v76, v59 :: v_dual_mul_f32 v76, 0xbf5db3d7, v25
	v_fmamk_f32 v49, v12, 0xbf5db3d7, v9
	v_fmamk_f32 v85, v61, 0x3f5db3d7, v2
	v_dual_fmac_f32 v2, 0xbf5db3d7, v61 :: v_dual_add_f32 v21, v33, v38
	v_fmac_f32_e32 v84, 0xbf5db3d7, v34
	v_dual_sub_f32 v34, v46, v35 :: v_dual_fmac_f32 v9, 0x3f5db3d7, v12
	v_fmac_f32_e32 v36, 0x3f5db3d7, v123
	v_add_f32_e32 v12, v17, v23
	v_sub_f32_e32 v23, v33, v38
	v_dual_mul_f32 v38, 0xbf5db3d7, v74 :: v_dual_add_f32 v69, v3, v43
	v_dual_add_f32 v43, v43, v51 :: v_dual_fmac_f32 v44, 0x3f5db3d7, v29
	s_delay_alu instid0(VALU_DEP_2) | instskip(NEXT) | instid1(VALU_DEP_3)
	v_dual_mul_f32 v45, 0xbf5db3d7, v24 :: v_dual_fmac_f32 v38, 0.5, v78
	v_add_f32_e32 v69, v69, v51
	s_delay_alu instid0(VALU_DEP_3) | instskip(SKIP_3) | instid1(VALU_DEP_4)
	v_fmac_f32_e32 v3, -0.5, v43
	v_mul_f32_e32 v43, 0x3f5db3d7, v26
	v_mul_f32_e32 v51, 0x3f5db3d7, v27
	v_dual_fmac_f32 v76, 0.5, v27 :: v_dual_add_f32 v27, v9, v32
	v_fmamk_f32 v61, v40, 0xbf5db3d7, v3
	s_delay_alu instid0(VALU_DEP_4) | instskip(SKIP_4) | instid1(VALU_DEP_4)
	v_fmac_f32_e32 v43, 0.5, v24
	v_dual_add_f32 v24, v77, v28 :: v_dual_fmac_f32 v55, -0.5, v47
	v_fmac_f32_e32 v3, 0x3f5db3d7, v40
	v_sub_f32_e32 v9, v9, v32
	v_add_f32_e32 v32, v48, v36
	v_dual_sub_f32 v36, v48, v36 :: v_dual_fmamk_f32 v75, v42, 0xbf5db3d7, v55
	v_dual_fmac_f32 v55, 0x3f5db3d7, v42 :: v_dual_sub_f32 v42, v65, v43
	v_add_f32_e32 v40, v57, v44
	v_dual_sub_f32 v44, v57, v44 :: v_dual_mul_f32 v47, -0.5, v29
	s_delay_alu instid0(VALU_DEP_3) | instskip(SKIP_3) | instid1(VALU_DEP_4)
	v_mul_f32_e32 v74, -0.5, v55
	v_sub_f32_e32 v19, v6, v31
	v_mul_f32_e32 v39, -0.5, v123
	v_fmac_f32_e32 v45, 0.5, v26
	v_dual_fmac_f32 v47, 0xbf5db3d7, v66 :: v_dual_fmac_f32 v74, 0xbf5db3d7, v56
	v_mul_f32_e32 v66, 0x3f5db3d7, v75
	v_add_f32_e32 v17, v6, v31
	v_dual_mul_f32 v31, 0xbf5db3d7, v79 :: v_dual_sub_f32 v28, v77, v28
	v_fmac_f32_e32 v30, 0x3f5db3d7, v71
	s_delay_alu instid0(VALU_DEP_4) | instskip(SKIP_2) | instid1(VALU_DEP_4)
	v_fmac_f32_e32 v66, 0.5, v86
	v_mul_f32_e32 v71, 0xbf5db3d7, v86
	v_fmac_f32_e32 v39, 0xbf5db3d7, v54
	v_dual_fmac_f32 v51, 0.5, v25 :: v_dual_add_f32 v26, v8, v30
	v_fmac_f32_e32 v31, 0.5, v67
	v_dual_mul_f32 v67, -0.5, v56 :: v_dual_sub_f32 v8, v8, v30
	v_fmac_f32_e32 v71, 0.5, v75
	v_add_f32_e32 v30, v46, v35
	s_delay_alu instid0(VALU_DEP_4) | instskip(NEXT) | instid1(VALU_DEP_4)
	v_sub_f32_e32 v29, v49, v31
	v_fmac_f32_e32 v67, 0x3f5db3d7, v55
	v_add_f32_e32 v25, v49, v31
	v_add_f32_e32 v31, v53, v38
	;; [unrolled: 1-line block ×3, first 2 shown]
	v_sub_f32_e32 v35, v53, v38
	v_sub_f32_e32 v37, v50, v39
	v_dual_add_f32 v38, v65, v43 :: v_dual_add_f32 v39, v80, v45
	v_add_f32_e32 v54, v85, v66
	v_add_f32_e32 v46, v81, v51
	v_add_f32_e32 v41, v7, v47
	global_wb scope:SCOPE_SE
	s_barrier_signal -1
	s_barrier_wait -1
	global_inv scope:SCOPE_SE
	ds_store_2addr_b64 v72, v[26:27], v[4:5] offset0:160 offset1:240
	v_dual_sub_f32 v43, v80, v45 :: v_dual_add_nc_u32 v4, 0x800, v10
	v_dual_sub_f32 v45, v7, v47 :: v_dual_add_f32 v48, v58, v73
	v_add_f32_e32 v47, v82, v76
	v_dual_add_f32 v49, v64, v84 :: v_dual_sub_f32 v50, v81, v51
	v_sub_f32_e32 v51, v82, v76
	v_dual_sub_f32 v53, v64, v84 :: v_dual_add_f32 v56, v2, v67
	v_add_f32_e32 v55, v61, v71
	v_add_f32_e32 v57, v3, v74
	v_sub_f32_e32 v64, v85, v66
	v_add_f32_e32 v6, v83, v70
	v_dual_sub_f32 v58, v83, v70 :: v_dual_add_f32 v7, v69, v59
	v_sub_f32_e32 v2, v2, v67
	v_sub_f32_e32 v59, v69, v59
	;; [unrolled: 1-line block ×4, first 2 shown]
	ds_store_2addr_b64 v11, v[28:29], v[8:9] offset0:64 offset1:144
	ds_store_2addr_b64 v72, v[0:1], v[12:13] offset1:16
	ds_store_2addr_b64 v10, v[30:31], v[38:39] offset0:96 offset1:112
	ds_store_2addr_b64 v10, v[32:33], v[40:41] offset0:176 offset1:192
	ds_store_2addr_b64 v4, v[14:15], v[18:19] offset1:16
	ds_store_2addr_b64 v4, v[34:35], v[42:43] offset0:80 offset1:96
	ds_store_2addr_b64 v4, v[36:37], v[44:45] offset0:160 offset1:176
	;; [unrolled: 1-line block ×9, first 2 shown]
	global_wb scope:SCOPE_SE
	s_wait_dscnt 0x0
	s_barrier_signal -1
	s_barrier_wait -1
	global_inv scope:SCOPE_SE
	s_and_saveexec_b32 s0, vcc_lo
	s_cbranch_execz .LBB0_23
; %bb.22:
	v_dual_mov_b32 v61, 0 :: v_dual_add_nc_u32 v6, 16, v60
	v_lshl_add_u32 v18, v60, 3, v68
	v_add_co_u32 v24, vcc_lo, s8, v62
	s_delay_alu instid0(VALU_DEP_3)
	v_lshlrev_b64_e32 v[4:5], 3, v[60:61]
	s_wait_alu 0xfffd
	v_add_co_ci_u32_e32 v25, vcc_lo, s9, v63, vcc_lo
	v_dual_mov_b32 v7, v61 :: v_dual_add_nc_u32 v8, 32, v60
	ds_load_2addr_b64 v[0:3], v18 offset1:16
	v_add_co_u32 v10, vcc_lo, v24, v4
	v_dual_mov_b32 v9, v61 :: v_dual_add_nc_u32 v14, 48, v60
	s_wait_alu 0xfffd
	v_add_co_ci_u32_e32 v11, vcc_lo, v25, v5, vcc_lo
	v_lshlrev_b64_e32 v[12:13], 3, v[6:7]
	ds_load_2addr_b64 v[4:7], v18 offset0:32 offset1:48
	v_dual_mov_b32 v15, v61 :: v_dual_add_nc_u32 v16, 64, v60
	v_lshlrev_b64_e32 v[8:9], 3, v[8:9]
	v_mov_b32_e32 v17, v61
	v_add_co_u32 v12, vcc_lo, v24, v12
	s_delay_alu instid0(VALU_DEP_4)
	v_lshlrev_b64_e32 v[14:15], 3, v[14:15]
	s_wait_alu 0xfffd
	v_add_co_ci_u32_e32 v13, vcc_lo, v25, v13, vcc_lo
	v_add_co_u32 v8, vcc_lo, v24, v8
	s_wait_alu 0xfffd
	v_add_co_ci_u32_e32 v9, vcc_lo, v25, v9, vcc_lo
	v_add_co_u32 v14, vcc_lo, v24, v14
	s_wait_alu 0xfffd
	v_add_co_ci_u32_e32 v15, vcc_lo, v25, v15, vcc_lo
	s_wait_dscnt 0x1
	s_clause 0x1
	global_store_b64 v[10:11], v[0:1], off
	global_store_b64 v[12:13], v[2:3], off
	s_wait_dscnt 0x0
	s_clause 0x1
	global_store_b64 v[8:9], v[4:5], off
	global_store_b64 v[14:15], v[6:7], off
	v_add_nc_u32_e32 v6, 0x50, v60
	v_lshlrev_b64_e32 v[4:5], 3, v[16:17]
	v_dual_mov_b32 v7, v61 :: v_dual_add_nc_u32 v8, 0x60, v60
	ds_load_2addr_b64 v[0:3], v18 offset0:64 offset1:80
	v_dual_mov_b32 v9, v61 :: v_dual_add_nc_u32 v14, 0x70, v60
	v_add_co_u32 v10, vcc_lo, v24, v4
	s_wait_alu 0xfffd
	v_add_co_ci_u32_e32 v11, vcc_lo, v25, v5, vcc_lo
	v_lshlrev_b64_e32 v[12:13], 3, v[6:7]
	ds_load_2addr_b64 v[4:7], v18 offset0:96 offset1:112
	v_dual_mov_b32 v15, v61 :: v_dual_add_nc_u32 v16, 0x80, v60
	v_lshlrev_b64_e32 v[8:9], 3, v[8:9]
	v_add_nc_u32_e32 v22, 0x800, v18
	v_add_co_u32 v12, vcc_lo, v24, v12
	s_delay_alu instid0(VALU_DEP_4)
	v_lshlrev_b64_e32 v[14:15], 3, v[14:15]
	s_wait_alu 0xfffd
	v_add_co_ci_u32_e32 v13, vcc_lo, v25, v13, vcc_lo
	v_add_co_u32 v8, vcc_lo, v24, v8
	s_wait_alu 0xfffd
	v_add_co_ci_u32_e32 v9, vcc_lo, v25, v9, vcc_lo
	v_add_co_u32 v14, vcc_lo, v24, v14
	s_wait_alu 0xfffd
	v_add_co_ci_u32_e32 v15, vcc_lo, v25, v15, vcc_lo
	s_wait_dscnt 0x1
	s_clause 0x1
	global_store_b64 v[10:11], v[0:1], off
	global_store_b64 v[12:13], v[2:3], off
	s_wait_dscnt 0x0
	s_clause 0x1
	global_store_b64 v[8:9], v[4:5], off
	global_store_b64 v[14:15], v[6:7], off
	v_lshlrev_b64_e32 v[4:5], 3, v[16:17]
	v_dual_mov_b32 v7, v61 :: v_dual_add_nc_u32 v6, 0x90, v60
	ds_load_2addr_b64 v[0:3], v18 offset0:128 offset1:144
	v_dual_mov_b32 v9, v61 :: v_dual_add_nc_u32 v8, 0xa0, v60
	v_add_co_u32 v10, vcc_lo, v24, v4
	s_wait_alu 0xfffd
	v_add_co_ci_u32_e32 v11, vcc_lo, v25, v5, vcc_lo
	v_lshlrev_b64_e32 v[12:13], 3, v[6:7]
	ds_load_2addr_b64 v[4:7], v18 offset0:160 offset1:176
	v_dual_mov_b32 v15, v61 :: v_dual_add_nc_u32 v14, 0xb0, v60
	v_lshlrev_b64_e32 v[8:9], 3, v[8:9]
	v_add_nc_u32_e32 v16, 0xc0, v60
	v_add_co_u32 v12, vcc_lo, v24, v12
	s_delay_alu instid0(VALU_DEP_4)
	v_lshlrev_b64_e32 v[14:15], 3, v[14:15]
	s_wait_alu 0xfffd
	v_add_co_ci_u32_e32 v13, vcc_lo, v25, v13, vcc_lo
	v_add_co_u32 v8, vcc_lo, v24, v8
	s_wait_alu 0xfffd
	v_add_co_ci_u32_e32 v9, vcc_lo, v25, v9, vcc_lo
	v_add_co_u32 v14, vcc_lo, v24, v14
	s_wait_alu 0xfffd
	v_add_co_ci_u32_e32 v15, vcc_lo, v25, v15, vcc_lo
	s_wait_dscnt 0x1
	s_clause 0x1
	global_store_b64 v[10:11], v[0:1], off
	global_store_b64 v[12:13], v[2:3], off
	s_wait_dscnt 0x0
	s_clause 0x1
	global_store_b64 v[8:9], v[4:5], off
	global_store_b64 v[14:15], v[6:7], off
	v_mov_b32_e32 v7, v61
	v_lshlrev_b64_e32 v[4:5], 3, v[16:17]
	v_dual_mov_b32 v9, v61 :: v_dual_add_nc_u32 v6, 0xd0, v60
	ds_load_2addr_b64 v[0:3], v18 offset0:192 offset1:208
	v_dual_mov_b32 v15, v61 :: v_dual_add_nc_u32 v8, 0xe0, v60
	v_add_co_u32 v10, vcc_lo, v24, v4
	s_wait_alu 0xfffd
	v_add_co_ci_u32_e32 v11, vcc_lo, v25, v5, vcc_lo
	v_lshlrev_b64_e32 v[12:13], 3, v[6:7]
	ds_load_2addr_b64 v[4:7], v18 offset0:224 offset1:240
	v_add_nc_u32_e32 v14, 0xf0, v60
	v_lshlrev_b64_e32 v[8:9], 3, v[8:9]
	v_add_nc_u32_e32 v16, 0x100, v60
	v_add_nc_u32_e32 v18, 0x1c0, v60
	v_add_co_u32 v12, vcc_lo, v24, v12
	v_lshlrev_b64_e32 v[14:15], 3, v[14:15]
	s_wait_alu 0xfffd
	v_add_co_ci_u32_e32 v13, vcc_lo, v25, v13, vcc_lo
	v_add_co_u32 v8, vcc_lo, v24, v8
	s_wait_alu 0xfffd
	v_add_co_ci_u32_e32 v9, vcc_lo, v25, v9, vcc_lo
	v_add_co_u32 v14, vcc_lo, v24, v14
	s_wait_alu 0xfffd
	v_add_co_ci_u32_e32 v15, vcc_lo, v25, v15, vcc_lo
	s_wait_dscnt 0x1
	s_clause 0x1
	global_store_b64 v[10:11], v[0:1], off
	global_store_b64 v[12:13], v[2:3], off
	s_wait_dscnt 0x0
	s_clause 0x1
	global_store_b64 v[8:9], v[4:5], off
	global_store_b64 v[14:15], v[6:7], off
	v_mov_b32_e32 v9, v61
	v_lshlrev_b64_e32 v[4:5], 3, v[16:17]
	v_dual_mov_b32 v7, v61 :: v_dual_add_nc_u32 v6, 0x110, v60
	v_mov_b32_e32 v15, v61
	ds_load_2addr_b64 v[0:3], v22 offset1:16
	v_add_nc_u32_e32 v8, 0x120, v60
	v_add_co_u32 v10, vcc_lo, v24, v4
	s_wait_alu 0xfffd
	v_add_co_ci_u32_e32 v11, vcc_lo, v25, v5, vcc_lo
	v_lshlrev_b64_e32 v[12:13], 3, v[6:7]
	ds_load_2addr_b64 v[4:7], v22 offset0:32 offset1:48
	v_add_nc_u32_e32 v14, 0x130, v60
	v_lshlrev_b64_e32 v[8:9], 3, v[8:9]
	v_dual_mov_b32 v19, v61 :: v_dual_add_nc_u32 v16, 0x140, v60
	v_add_co_u32 v12, vcc_lo, v24, v12
	s_delay_alu instid0(VALU_DEP_4)
	v_lshlrev_b64_e32 v[14:15], 3, v[14:15]
	s_wait_alu 0xfffd
	v_add_co_ci_u32_e32 v13, vcc_lo, v25, v13, vcc_lo
	v_add_co_u32 v8, vcc_lo, v24, v8
	s_wait_alu 0xfffd
	v_add_co_ci_u32_e32 v9, vcc_lo, v25, v9, vcc_lo
	v_add_co_u32 v14, vcc_lo, v24, v14
	s_wait_alu 0xfffd
	v_add_co_ci_u32_e32 v15, vcc_lo, v25, v15, vcc_lo
	s_wait_dscnt 0x1
	s_clause 0x1
	global_store_b64 v[10:11], v[0:1], off
	global_store_b64 v[12:13], v[2:3], off
	s_wait_dscnt 0x0
	s_clause 0x1
	global_store_b64 v[8:9], v[4:5], off
	global_store_b64 v[14:15], v[6:7], off
	v_lshlrev_b64_e32 v[4:5], 3, v[16:17]
	v_dual_mov_b32 v7, v61 :: v_dual_add_nc_u32 v6, 0x150, v60
	ds_load_2addr_b64 v[0:3], v22 offset0:64 offset1:80
	v_dual_mov_b32 v9, v61 :: v_dual_add_nc_u32 v8, 0x160, v60
	v_add_co_u32 v10, vcc_lo, v24, v4
	s_wait_alu 0xfffd
	v_add_co_ci_u32_e32 v11, vcc_lo, v25, v5, vcc_lo
	v_lshlrev_b64_e32 v[12:13], 3, v[6:7]
	ds_load_2addr_b64 v[4:7], v22 offset0:96 offset1:112
	v_dual_mov_b32 v15, v61 :: v_dual_add_nc_u32 v14, 0x170, v60
	v_lshlrev_b64_e32 v[8:9], 3, v[8:9]
	v_add_nc_u32_e32 v16, 0x180, v60
	v_add_co_u32 v12, vcc_lo, v24, v12
	s_delay_alu instid0(VALU_DEP_4)
	v_lshlrev_b64_e32 v[14:15], 3, v[14:15]
	s_wait_alu 0xfffd
	v_add_co_ci_u32_e32 v13, vcc_lo, v25, v13, vcc_lo
	v_add_co_u32 v8, vcc_lo, v24, v8
	s_wait_alu 0xfffd
	v_add_co_ci_u32_e32 v9, vcc_lo, v25, v9, vcc_lo
	v_add_co_u32 v14, vcc_lo, v24, v14
	s_wait_alu 0xfffd
	v_add_co_ci_u32_e32 v15, vcc_lo, v25, v15, vcc_lo
	s_wait_dscnt 0x1
	s_clause 0x1
	global_store_b64 v[10:11], v[0:1], off
	global_store_b64 v[12:13], v[2:3], off
	s_wait_dscnt 0x0
	s_clause 0x1
	global_store_b64 v[8:9], v[4:5], off
	global_store_b64 v[14:15], v[6:7], off
	v_dual_mov_b32 v5, v61 :: v_dual_add_nc_u32 v4, 0x190, v60
	v_lshlrev_b64_e32 v[16:17], 3, v[16:17]
	v_dual_mov_b32 v7, v61 :: v_dual_add_nc_u32 v6, 0x1a0, v60
	v_add_nc_u32_e32 v8, 0x1b0, v60
	s_delay_alu instid0(VALU_DEP_4)
	v_lshlrev_b64_e32 v[4:5], 3, v[4:5]
	v_mov_b32_e32 v9, v61
	v_add_co_u32 v12, vcc_lo, v24, v16
	v_lshlrev_b64_e32 v[10:11], 3, v[6:7]
	s_wait_alu 0xfffd
	v_add_co_ci_u32_e32 v13, vcc_lo, v25, v17, vcc_lo
	v_add_co_u32 v14, vcc_lo, v24, v4
	ds_load_2addr_b64 v[0:3], v22 offset0:128 offset1:144
	s_wait_alu 0xfffd
	v_add_co_ci_u32_e32 v15, vcc_lo, v25, v5, vcc_lo
	ds_load_2addr_b64 v[4:7], v22 offset0:160 offset1:176
	v_add_co_u32 v20, vcc_lo, v24, v10
	v_lshlrev_b64_e32 v[16:17], 3, v[8:9]
	s_wait_alu 0xfffd
	v_add_co_ci_u32_e32 v21, vcc_lo, v25, v11, vcc_lo
	ds_load_2addr_b64 v[8:11], v22 offset0:192 offset1:208
	v_add_nc_u32_e32 v60, 0x1d0, v60
	v_lshlrev_b64_e32 v[18:19], 3, v[18:19]
	v_add_co_u32 v16, vcc_lo, v24, v16
	s_wait_alu 0xfffd
	v_add_co_ci_u32_e32 v17, vcc_lo, v25, v17, vcc_lo
	v_lshlrev_b64_e32 v[22:23], 3, v[60:61]
	s_delay_alu instid0(VALU_DEP_4) | instskip(SKIP_2) | instid1(VALU_DEP_3)
	v_add_co_u32 v18, vcc_lo, v24, v18
	s_wait_alu 0xfffd
	v_add_co_ci_u32_e32 v19, vcc_lo, v25, v19, vcc_lo
	v_add_co_u32 v22, vcc_lo, v24, v22
	s_wait_alu 0xfffd
	v_add_co_ci_u32_e32 v23, vcc_lo, v25, v23, vcc_lo
	s_wait_dscnt 0x2
	s_clause 0x1
	global_store_b64 v[12:13], v[0:1], off
	global_store_b64 v[14:15], v[2:3], off
	s_wait_dscnt 0x1
	s_clause 0x1
	global_store_b64 v[20:21], v[4:5], off
	global_store_b64 v[16:17], v[6:7], off
	;; [unrolled: 4-line block ×3, first 2 shown]
.LBB0_23:
	s_nop 0
	s_sendmsg sendmsg(MSG_DEALLOC_VGPRS)
	s_endpgm
	.section	.rodata,"a",@progbits
	.p2align	6, 0x0
	.amdhsa_kernel fft_rtc_fwd_len480_factors_10_8_6_wgs_64_tpt_16_halfLds_sp_ip_CI_unitstride_sbrr_C2R_dirReg
		.amdhsa_group_segment_fixed_size 0
		.amdhsa_private_segment_fixed_size 0
		.amdhsa_kernarg_size 88
		.amdhsa_user_sgpr_count 2
		.amdhsa_user_sgpr_dispatch_ptr 0
		.amdhsa_user_sgpr_queue_ptr 0
		.amdhsa_user_sgpr_kernarg_segment_ptr 1
		.amdhsa_user_sgpr_dispatch_id 0
		.amdhsa_user_sgpr_private_segment_size 0
		.amdhsa_wavefront_size32 1
		.amdhsa_uses_dynamic_stack 0
		.amdhsa_enable_private_segment 0
		.amdhsa_system_sgpr_workgroup_id_x 1
		.amdhsa_system_sgpr_workgroup_id_y 0
		.amdhsa_system_sgpr_workgroup_id_z 0
		.amdhsa_system_sgpr_workgroup_info 0
		.amdhsa_system_vgpr_workitem_id 0
		.amdhsa_next_free_vgpr 143
		.amdhsa_next_free_sgpr 32
		.amdhsa_reserve_vcc 1
		.amdhsa_float_round_mode_32 0
		.amdhsa_float_round_mode_16_64 0
		.amdhsa_float_denorm_mode_32 3
		.amdhsa_float_denorm_mode_16_64 3
		.amdhsa_fp16_overflow 0
		.amdhsa_workgroup_processor_mode 1
		.amdhsa_memory_ordered 1
		.amdhsa_forward_progress 0
		.amdhsa_round_robin_scheduling 0
		.amdhsa_exception_fp_ieee_invalid_op 0
		.amdhsa_exception_fp_denorm_src 0
		.amdhsa_exception_fp_ieee_div_zero 0
		.amdhsa_exception_fp_ieee_overflow 0
		.amdhsa_exception_fp_ieee_underflow 0
		.amdhsa_exception_fp_ieee_inexact 0
		.amdhsa_exception_int_div_zero 0
	.end_amdhsa_kernel
	.text
.Lfunc_end0:
	.size	fft_rtc_fwd_len480_factors_10_8_6_wgs_64_tpt_16_halfLds_sp_ip_CI_unitstride_sbrr_C2R_dirReg, .Lfunc_end0-fft_rtc_fwd_len480_factors_10_8_6_wgs_64_tpt_16_halfLds_sp_ip_CI_unitstride_sbrr_C2R_dirReg
                                        ; -- End function
	.section	.AMDGPU.csdata,"",@progbits
; Kernel info:
; codeLenInByte = 14116
; NumSgprs: 34
; NumVgprs: 143
; ScratchSize: 0
; MemoryBound: 0
; FloatMode: 240
; IeeeMode: 1
; LDSByteSize: 0 bytes/workgroup (compile time only)
; SGPRBlocks: 4
; VGPRBlocks: 17
; NumSGPRsForWavesPerEU: 34
; NumVGPRsForWavesPerEU: 143
; Occupancy: 10
; WaveLimiterHint : 1
; COMPUTE_PGM_RSRC2:SCRATCH_EN: 0
; COMPUTE_PGM_RSRC2:USER_SGPR: 2
; COMPUTE_PGM_RSRC2:TRAP_HANDLER: 0
; COMPUTE_PGM_RSRC2:TGID_X_EN: 1
; COMPUTE_PGM_RSRC2:TGID_Y_EN: 0
; COMPUTE_PGM_RSRC2:TGID_Z_EN: 0
; COMPUTE_PGM_RSRC2:TIDIG_COMP_CNT: 0
	.text
	.p2alignl 7, 3214868480
	.fill 96, 4, 3214868480
	.type	__hip_cuid_1214870eea5e9a69,@object ; @__hip_cuid_1214870eea5e9a69
	.section	.bss,"aw",@nobits
	.globl	__hip_cuid_1214870eea5e9a69
__hip_cuid_1214870eea5e9a69:
	.byte	0                               ; 0x0
	.size	__hip_cuid_1214870eea5e9a69, 1

	.ident	"AMD clang version 19.0.0git (https://github.com/RadeonOpenCompute/llvm-project roc-6.4.0 25133 c7fe45cf4b819c5991fe208aaa96edf142730f1d)"
	.section	".note.GNU-stack","",@progbits
	.addrsig
	.addrsig_sym __hip_cuid_1214870eea5e9a69
	.amdgpu_metadata
---
amdhsa.kernels:
  - .args:
      - .actual_access:  read_only
        .address_space:  global
        .offset:         0
        .size:           8
        .value_kind:     global_buffer
      - .offset:         8
        .size:           8
        .value_kind:     by_value
      - .actual_access:  read_only
        .address_space:  global
        .offset:         16
        .size:           8
        .value_kind:     global_buffer
      - .actual_access:  read_only
        .address_space:  global
        .offset:         24
        .size:           8
        .value_kind:     global_buffer
      - .offset:         32
        .size:           8
        .value_kind:     by_value
      - .actual_access:  read_only
        .address_space:  global
        .offset:         40
        .size:           8
        .value_kind:     global_buffer
      - .actual_access:  read_only
        .address_space:  global
        .offset:         48
        .size:           8
        .value_kind:     global_buffer
      - .offset:         56
        .size:           4
        .value_kind:     by_value
      - .actual_access:  read_only
        .address_space:  global
        .offset:         64
        .size:           8
        .value_kind:     global_buffer
      - .actual_access:  read_only
        .address_space:  global
        .offset:         72
        .size:           8
        .value_kind:     global_buffer
      - .address_space:  global
        .offset:         80
        .size:           8
        .value_kind:     global_buffer
    .group_segment_fixed_size: 0
    .kernarg_segment_align: 8
    .kernarg_segment_size: 88
    .language:       OpenCL C
    .language_version:
      - 2
      - 0
    .max_flat_workgroup_size: 64
    .name:           fft_rtc_fwd_len480_factors_10_8_6_wgs_64_tpt_16_halfLds_sp_ip_CI_unitstride_sbrr_C2R_dirReg
    .private_segment_fixed_size: 0
    .sgpr_count:     34
    .sgpr_spill_count: 0
    .symbol:         fft_rtc_fwd_len480_factors_10_8_6_wgs_64_tpt_16_halfLds_sp_ip_CI_unitstride_sbrr_C2R_dirReg.kd
    .uniform_work_group_size: 1
    .uses_dynamic_stack: false
    .vgpr_count:     143
    .vgpr_spill_count: 0
    .wavefront_size: 32
    .workgroup_processor_mode: 1
amdhsa.target:   amdgcn-amd-amdhsa--gfx1201
amdhsa.version:
  - 1
  - 2
...

	.end_amdgpu_metadata
